;; amdgpu-corpus repo=ROCm/rocFFT kind=compiled arch=gfx1030 opt=O3
	.text
	.amdgcn_target "amdgcn-amd-amdhsa--gfx1030"
	.amdhsa_code_object_version 6
	.protected	fft_rtc_back_len816_factors_17_2_3_2_2_2_wgs_51_tpt_51_halfLds_half_op_CI_CI_unitstride_sbrr_R2C_dirReg ; -- Begin function fft_rtc_back_len816_factors_17_2_3_2_2_2_wgs_51_tpt_51_halfLds_half_op_CI_CI_unitstride_sbrr_R2C_dirReg
	.globl	fft_rtc_back_len816_factors_17_2_3_2_2_2_wgs_51_tpt_51_halfLds_half_op_CI_CI_unitstride_sbrr_R2C_dirReg
	.p2align	8
	.type	fft_rtc_back_len816_factors_17_2_3_2_2_2_wgs_51_tpt_51_halfLds_half_op_CI_CI_unitstride_sbrr_R2C_dirReg,@function
fft_rtc_back_len816_factors_17_2_3_2_2_2_wgs_51_tpt_51_halfLds_half_op_CI_CI_unitstride_sbrr_R2C_dirReg: ; @fft_rtc_back_len816_factors_17_2_3_2_2_2_wgs_51_tpt_51_halfLds_half_op_CI_CI_unitstride_sbrr_R2C_dirReg
; %bb.0:
	s_clause 0x2
	s_load_dwordx4 s[12:15], s[4:5], 0x0
	s_load_dwordx4 s[8:11], s[4:5], 0x58
	;; [unrolled: 1-line block ×3, first 2 shown]
	v_mul_u32_u24_e32 v1, 0x506, v0
	v_mov_b32_e32 v3, 0
	v_mov_b32_e32 v7, 0
	;; [unrolled: 1-line block ×3, first 2 shown]
	v_add_nc_u32_sdwa v9, s6, v1 dst_sel:DWORD dst_unused:UNUSED_PAD src0_sel:DWORD src1_sel:WORD_1
	v_mov_b32_e32 v10, v3
	s_waitcnt lgkmcnt(0)
	v_cmp_lt_u64_e64 s0, s[14:15], 2
	s_and_b32 vcc_lo, exec_lo, s0
	s_cbranch_vccnz .LBB0_8
; %bb.1:
	s_load_dwordx2 s[0:1], s[4:5], 0x10
	v_mov_b32_e32 v7, 0
	v_mov_b32_e32 v8, 0
	s_add_u32 s2, s18, 8
	s_addc_u32 s3, s19, 0
	v_mov_b32_e32 v1, v7
	s_add_u32 s6, s16, 8
	v_mov_b32_e32 v2, v8
	s_addc_u32 s7, s17, 0
	s_mov_b64 s[22:23], 1
	s_waitcnt lgkmcnt(0)
	s_add_u32 s20, s0, 8
	s_addc_u32 s21, s1, 0
.LBB0_2:                                ; =>This Inner Loop Header: Depth=1
	s_load_dwordx2 s[24:25], s[20:21], 0x0
                                        ; implicit-def: $vgpr5_vgpr6
	s_mov_b32 s0, exec_lo
	s_waitcnt lgkmcnt(0)
	v_or_b32_e32 v4, s25, v10
	v_cmpx_ne_u64_e32 0, v[3:4]
	s_xor_b32 s1, exec_lo, s0
	s_cbranch_execz .LBB0_4
; %bb.3:                                ;   in Loop: Header=BB0_2 Depth=1
	v_cvt_f32_u32_e32 v4, s24
	v_cvt_f32_u32_e32 v5, s25
	s_sub_u32 s0, 0, s24
	s_subb_u32 s26, 0, s25
	v_fmac_f32_e32 v4, 0x4f800000, v5
	v_rcp_f32_e32 v4, v4
	v_mul_f32_e32 v4, 0x5f7ffffc, v4
	v_mul_f32_e32 v5, 0x2f800000, v4
	v_trunc_f32_e32 v5, v5
	v_fmac_f32_e32 v4, 0xcf800000, v5
	v_cvt_u32_f32_e32 v5, v5
	v_cvt_u32_f32_e32 v4, v4
	v_mul_lo_u32 v6, s0, v5
	v_mul_hi_u32 v11, s0, v4
	v_mul_lo_u32 v12, s26, v4
	v_add_nc_u32_e32 v6, v11, v6
	v_mul_lo_u32 v11, s0, v4
	v_add_nc_u32_e32 v6, v6, v12
	v_mul_hi_u32 v12, v4, v11
	v_mul_lo_u32 v13, v4, v6
	v_mul_hi_u32 v14, v4, v6
	v_mul_hi_u32 v15, v5, v11
	v_mul_lo_u32 v11, v5, v11
	v_mul_hi_u32 v16, v5, v6
	v_mul_lo_u32 v6, v5, v6
	v_add_co_u32 v12, vcc_lo, v12, v13
	v_add_co_ci_u32_e32 v13, vcc_lo, 0, v14, vcc_lo
	v_add_co_u32 v11, vcc_lo, v12, v11
	v_add_co_ci_u32_e32 v11, vcc_lo, v13, v15, vcc_lo
	v_add_co_ci_u32_e32 v12, vcc_lo, 0, v16, vcc_lo
	v_add_co_u32 v6, vcc_lo, v11, v6
	v_add_co_ci_u32_e32 v11, vcc_lo, 0, v12, vcc_lo
	v_add_co_u32 v4, vcc_lo, v4, v6
	v_add_co_ci_u32_e32 v5, vcc_lo, v5, v11, vcc_lo
	v_mul_hi_u32 v6, s0, v4
	v_mul_lo_u32 v12, s26, v4
	v_mul_lo_u32 v11, s0, v5
	v_add_nc_u32_e32 v6, v6, v11
	v_mul_lo_u32 v11, s0, v4
	v_add_nc_u32_e32 v6, v6, v12
	v_mul_hi_u32 v12, v4, v11
	v_mul_lo_u32 v13, v4, v6
	v_mul_hi_u32 v14, v4, v6
	v_mul_hi_u32 v15, v5, v11
	v_mul_lo_u32 v11, v5, v11
	v_mul_hi_u32 v16, v5, v6
	v_mul_lo_u32 v6, v5, v6
	v_add_co_u32 v12, vcc_lo, v12, v13
	v_add_co_ci_u32_e32 v13, vcc_lo, 0, v14, vcc_lo
	v_add_co_u32 v11, vcc_lo, v12, v11
	v_add_co_ci_u32_e32 v11, vcc_lo, v13, v15, vcc_lo
	v_add_co_ci_u32_e32 v12, vcc_lo, 0, v16, vcc_lo
	v_add_co_u32 v6, vcc_lo, v11, v6
	v_add_co_ci_u32_e32 v11, vcc_lo, 0, v12, vcc_lo
	v_add_co_u32 v6, vcc_lo, v4, v6
	v_add_co_ci_u32_e32 v13, vcc_lo, v5, v11, vcc_lo
	v_mul_hi_u32 v15, v9, v6
	v_mad_u64_u32 v[11:12], null, v10, v6, 0
	v_mad_u64_u32 v[4:5], null, v9, v13, 0
	;; [unrolled: 1-line block ×3, first 2 shown]
	v_add_co_u32 v4, vcc_lo, v15, v4
	v_add_co_ci_u32_e32 v5, vcc_lo, 0, v5, vcc_lo
	v_add_co_u32 v4, vcc_lo, v4, v11
	v_add_co_ci_u32_e32 v4, vcc_lo, v5, v12, vcc_lo
	v_add_co_ci_u32_e32 v5, vcc_lo, 0, v14, vcc_lo
	v_add_co_u32 v11, vcc_lo, v4, v13
	v_add_co_ci_u32_e32 v6, vcc_lo, 0, v5, vcc_lo
	v_mul_lo_u32 v12, s25, v11
	v_mad_u64_u32 v[4:5], null, s24, v11, 0
	v_mul_lo_u32 v13, s24, v6
	v_sub_co_u32 v4, vcc_lo, v9, v4
	v_add3_u32 v5, v5, v13, v12
	v_sub_nc_u32_e32 v12, v10, v5
	v_subrev_co_ci_u32_e64 v12, s0, s25, v12, vcc_lo
	v_add_co_u32 v13, s0, v11, 2
	v_add_co_ci_u32_e64 v14, s0, 0, v6, s0
	v_sub_co_u32 v15, s0, v4, s24
	v_sub_co_ci_u32_e32 v5, vcc_lo, v10, v5, vcc_lo
	v_subrev_co_ci_u32_e64 v12, s0, 0, v12, s0
	v_cmp_le_u32_e32 vcc_lo, s24, v15
	v_cmp_eq_u32_e64 s0, s25, v5
	v_cndmask_b32_e64 v15, 0, -1, vcc_lo
	v_cmp_le_u32_e32 vcc_lo, s25, v12
	v_cndmask_b32_e64 v16, 0, -1, vcc_lo
	v_cmp_le_u32_e32 vcc_lo, s24, v4
	;; [unrolled: 2-line block ×3, first 2 shown]
	v_cndmask_b32_e64 v17, 0, -1, vcc_lo
	v_cmp_eq_u32_e32 vcc_lo, s25, v12
	v_cndmask_b32_e64 v4, v17, v4, s0
	v_cndmask_b32_e32 v12, v16, v15, vcc_lo
	v_add_co_u32 v15, vcc_lo, v11, 1
	v_add_co_ci_u32_e32 v16, vcc_lo, 0, v6, vcc_lo
	v_cmp_ne_u32_e32 vcc_lo, 0, v12
	v_cndmask_b32_e32 v5, v16, v14, vcc_lo
	v_cndmask_b32_e32 v12, v15, v13, vcc_lo
	v_cmp_ne_u32_e32 vcc_lo, 0, v4
	v_cndmask_b32_e32 v6, v6, v5, vcc_lo
	v_cndmask_b32_e32 v5, v11, v12, vcc_lo
.LBB0_4:                                ;   in Loop: Header=BB0_2 Depth=1
	s_andn2_saveexec_b32 s0, s1
	s_cbranch_execz .LBB0_6
; %bb.5:                                ;   in Loop: Header=BB0_2 Depth=1
	v_cvt_f32_u32_e32 v4, s24
	s_sub_i32 s1, 0, s24
	v_rcp_iflag_f32_e32 v4, v4
	v_mul_f32_e32 v4, 0x4f7ffffe, v4
	v_cvt_u32_f32_e32 v4, v4
	v_mul_lo_u32 v5, s1, v4
	v_mul_hi_u32 v5, v4, v5
	v_add_nc_u32_e32 v4, v4, v5
	v_mul_hi_u32 v4, v9, v4
	v_mul_lo_u32 v5, v4, s24
	v_add_nc_u32_e32 v6, 1, v4
	v_sub_nc_u32_e32 v5, v9, v5
	v_subrev_nc_u32_e32 v11, s24, v5
	v_cmp_le_u32_e32 vcc_lo, s24, v5
	v_cndmask_b32_e32 v5, v5, v11, vcc_lo
	v_cndmask_b32_e32 v4, v4, v6, vcc_lo
	v_cmp_le_u32_e32 vcc_lo, s24, v5
	v_add_nc_u32_e32 v6, 1, v4
	v_cndmask_b32_e32 v5, v4, v6, vcc_lo
	v_mov_b32_e32 v6, v3
.LBB0_6:                                ;   in Loop: Header=BB0_2 Depth=1
	s_or_b32 exec_lo, exec_lo, s0
	v_mul_lo_u32 v4, v6, s24
	v_mul_lo_u32 v13, v5, s25
	s_load_dwordx2 s[0:1], s[6:7], 0x0
	v_mad_u64_u32 v[11:12], null, v5, s24, 0
	s_load_dwordx2 s[24:25], s[2:3], 0x0
	s_add_u32 s22, s22, 1
	s_addc_u32 s23, s23, 0
	s_add_u32 s2, s2, 8
	s_addc_u32 s3, s3, 0
	s_add_u32 s6, s6, 8
	v_add3_u32 v4, v12, v13, v4
	v_sub_co_u32 v9, vcc_lo, v9, v11
	s_addc_u32 s7, s7, 0
	s_add_u32 s20, s20, 8
	v_sub_co_ci_u32_e32 v4, vcc_lo, v10, v4, vcc_lo
	s_addc_u32 s21, s21, 0
	s_waitcnt lgkmcnt(0)
	v_mul_lo_u32 v10, s0, v4
	v_mul_lo_u32 v11, s1, v9
	v_mad_u64_u32 v[7:8], null, s0, v9, v[7:8]
	v_mul_lo_u32 v4, s24, v4
	v_mul_lo_u32 v12, s25, v9
	v_mad_u64_u32 v[1:2], null, s24, v9, v[1:2]
	v_cmp_ge_u64_e64 s0, s[22:23], s[14:15]
	v_add3_u32 v8, v11, v8, v10
	v_add3_u32 v2, v12, v2, v4
	s_and_b32 vcc_lo, exec_lo, s0
	s_cbranch_vccnz .LBB0_9
; %bb.7:                                ;   in Loop: Header=BB0_2 Depth=1
	v_mov_b32_e32 v10, v6
	v_mov_b32_e32 v9, v5
	s_branch .LBB0_2
.LBB0_8:
	v_mov_b32_e32 v1, v7
	v_mov_b32_e32 v5, v9
	;; [unrolled: 1-line block ×4, first 2 shown]
.LBB0_9:
	s_load_dwordx2 s[0:1], s[4:5], 0x28
	v_mul_hi_u32 v4, 0x5050506, v0
	s_lshl_b64 s[4:5], s[14:15], 3
                                        ; implicit-def: $vgpr3
	s_add_u32 s2, s18, s4
	s_addc_u32 s3, s19, s5
	s_waitcnt lgkmcnt(0)
	v_cmp_gt_u64_e32 vcc_lo, s[0:1], v[5:6]
	v_cmp_le_u64_e64 s0, s[0:1], v[5:6]
	s_and_saveexec_b32 s1, s0
	s_xor_b32 s0, exec_lo, s1
; %bb.10:
	v_mul_u32_u24_e32 v3, 51, v4
                                        ; implicit-def: $vgpr4
                                        ; implicit-def: $vgpr7_vgpr8
	v_sub_nc_u32_e32 v3, v0, v3
                                        ; implicit-def: $vgpr0
; %bb.11:
	s_andn2_saveexec_b32 s1, s0
	s_cbranch_execz .LBB0_13
; %bb.12:
	s_add_u32 s4, s16, s4
	s_addc_u32 s5, s17, s5
	v_lshlrev_b64 v[7:8], 2, v[7:8]
	s_load_dwordx2 s[4:5], s[4:5], 0x0
	s_waitcnt lgkmcnt(0)
	v_mul_lo_u32 v3, s5, v5
	v_mul_lo_u32 v11, s4, v6
	v_mad_u64_u32 v[9:10], null, s4, v5, 0
	v_add3_u32 v10, v10, v11, v3
	v_mul_u32_u24_e32 v3, 51, v4
	v_lshlrev_b64 v[9:10], 2, v[9:10]
	v_sub_nc_u32_e32 v3, v0, v3
	v_lshlrev_b32_e32 v11, 2, v3
	v_add_co_u32 v0, s0, s8, v9
	v_add_co_ci_u32_e64 v4, s0, s9, v10, s0
	v_add_co_u32 v0, s0, v0, v7
	v_add_co_ci_u32_e64 v4, s0, v4, v8, s0
	;; [unrolled: 2-line block ×4, first 2 shown]
	s_clause 0xf
	global_load_dword v0, v[7:8], off
	global_load_dword v4, v[7:8], off offset:204
	global_load_dword v12, v[7:8], off offset:408
	;; [unrolled: 1-line block ×15, first 2 shown]
	v_add_nc_u32_e32 v10, 0, v11
	v_add_nc_u32_e32 v11, 0x400, v10
	;; [unrolled: 1-line block ×4, first 2 shown]
	s_waitcnt vmcnt(14)
	ds_write2_b32 v10, v0, v4 offset1:51
	s_waitcnt vmcnt(12)
	ds_write2_b32 v10, v12, v13 offset0:102 offset1:153
	s_waitcnt vmcnt(10)
	ds_write2_b32 v10, v14, v15 offset0:204 offset1:255
	;; [unrolled: 2-line block ×7, first 2 shown]
.LBB0_13:
	s_or_b32 exec_lo, exec_lo, s1
	v_lshl_add_u32 v0, v3, 2, 0
	s_waitcnt lgkmcnt(0)
	s_barrier
	buffer_gl0_inv
	s_mov_b32 s1, exec_lo
	ds_read2_b32 v[7:8], v0 offset1:48
	ds_read_b32 v39, v0 offset:3072
	v_add_nc_u32_e32 v25, 0x800, v0
	v_add_nc_u32_e32 v24, 0x400, v0
	;; [unrolled: 1-line block ×3, first 2 shown]
	ds_read2_b32 v[21:22], v0 offset0:96 offset1:144
	ds_read2_b32 v[9:10], v25 offset0:160 offset1:208
	;; [unrolled: 1-line block ×7, first 2 shown]
	s_waitcnt lgkmcnt(0)
	s_barrier
	buffer_gl0_inv
	v_pk_add_f16 v38, v8, v39 neg_lo:[0,1] neg_hi:[0,1]
	v_pk_add_f16 v43, v39, v8
	v_pk_add_f16 v31, v19, v12 neg_lo:[0,1] neg_hi:[0,1]
	v_pk_add_f16 v40, v12, v19
	v_pk_mul_f16 v4, 0xb5c8, v38 op_sel_hi:[0,1]
	v_pk_add_f16 v33, v21, v10 neg_lo:[0,1] neg_hi:[0,1]
	v_pk_add_f16 v42, v10, v21
	v_pk_add_f16 v32, v22, v9 neg_lo:[0,1] neg_hi:[0,1]
	v_pk_add_f16 v41, v9, v22
	v_pk_fma_f16 v47, 0x3b76, v43, v4 op_sel:[0,0,1] op_sel_hi:[0,1,0] neg_lo:[0,0,1] neg_hi:[0,0,1]
	v_pk_mul_f16 v23, 0xb964, v33 op_sel_hi:[0,1]
	v_pk_fma_f16 v51, 0x3b76, v43, v4 op_sel:[0,0,1] op_sel_hi:[0,1,0]
	v_pk_mul_f16 v4, 0xbb29, v32 op_sel_hi:[0,1]
	v_pk_add_f16 v30, v20, v11 neg_lo:[0,1] neg_hi:[0,1]
	v_pk_mul_f16 v48, 0xbbf7, v31 op_sel_hi:[0,1]
	v_pk_fma_f16 v44, 0x39e9, v42, v23 op_sel:[0,0,1] op_sel_hi:[0,1,0] neg_lo:[0,0,1] neg_hi:[0,0,1]
	v_pk_fma_f16 v45, 0x39e9, v42, v23 op_sel:[0,0,1] op_sel_hi:[0,1,0]
	v_add_f16_e32 v23, v7, v47
	v_add_f16_sdwa v46, v7, v51 dst_sel:DWORD dst_unused:UNUSED_PAD src0_sel:WORD_1 src1_sel:WORD_1
	v_pk_fma_f16 v58, 0x3722, v41, v4 op_sel:[0,0,1] op_sel_hi:[0,1,0] neg_lo:[0,0,1] neg_hi:[0,0,1]
	v_pk_fma_f16 v59, 0x3722, v41, v4 op_sel:[0,0,1] op_sel_hi:[0,1,0]
	v_pk_add_f16 v37, v11, v20
	v_add_f16_e32 v4, v44, v23
	v_add_f16_sdwa v23, v45, v46 dst_sel:DWORD dst_unused:UNUSED_PAD src0_sel:WORD_1 src1_sel:DWORD
	v_pk_add_f16 v29, v17, v14 neg_lo:[0,1] neg_hi:[0,1]
	v_pk_mul_f16 v46, 0xbbb2, v30 op_sel_hi:[0,1]
	v_pk_fma_f16 v52, 0x2de8, v40, v48 op_sel:[0,0,1] op_sel_hi:[0,1,0] neg_lo:[0,0,1] neg_hi:[0,0,1]
	v_pk_fma_f16 v56, 0x2de8, v40, v48 op_sel:[0,0,1] op_sel_hi:[0,1,0]
	v_add_f16_e32 v4, v58, v4
	v_add_f16_sdwa v23, v59, v23 dst_sel:DWORD dst_unused:UNUSED_PAD src0_sel:WORD_1 src1_sel:DWORD
	v_pk_add_f16 v36, v14, v17
	v_pk_add_f16 v27, v18, v13 neg_lo:[0,1] neg_hi:[0,1]
	v_pk_mul_f16 v49, 0xba62, v29 op_sel_hi:[0,1]
	v_pk_fma_f16 v53, 0xb461, v37, v46 op_sel:[0,0,1] op_sel_hi:[0,1,0] neg_lo:[0,0,1] neg_hi:[0,0,1]
	v_pk_fma_f16 v57, 0xb461, v37, v46 op_sel:[0,0,1] op_sel_hi:[0,1,0]
	v_add_f16_e32 v4, v52, v4
	v_add_f16_sdwa v23, v56, v23 dst_sel:DWORD dst_unused:UNUSED_PAD src0_sel:WORD_1 src1_sel:DWORD
	v_pk_add_f16 v35, v13, v18
	;; [unrolled: 7-line block ×3, first 2 shown]
	v_pk_mul_f16 v50, 0xb1e1, v28 op_sel_hi:[0,1]
	v_pk_fma_f16 v49, 0xbacd, v35, v46 op_sel:[0,0,1] op_sel_hi:[0,1,0] neg_lo:[0,0,1] neg_hi:[0,0,1]
	v_pk_fma_f16 v55, 0xbacd, v35, v46 op_sel:[0,0,1] op_sel_hi:[0,1,0]
	v_add_f16_e32 v4, v48, v4
	v_add_f16_sdwa v23, v54, v23 dst_sel:DWORD dst_unused:UNUSED_PAD src0_sel:WORD_1 src1_sel:DWORD
	v_pk_fma_f16 v46, 0xbbdd, v34, v50 op_sel:[0,0,1] op_sel_hi:[0,1,0] neg_lo:[0,0,1] neg_hi:[0,0,1]
	v_pk_fma_f16 v50, 0xbbdd, v34, v50 op_sel:[0,0,1] op_sel_hi:[0,1,0]
	v_add_f16_e32 v4, v49, v4
	v_add_f16_sdwa v23, v55, v23 dst_sel:DWORD dst_unused:UNUSED_PAD src0_sel:WORD_1 src1_sel:DWORD
	v_add_f16_e32 v4, v46, v4
	v_add_f16_sdwa v23, v50, v23 dst_sel:DWORD dst_unused:UNUSED_PAD src0_sel:WORD_1 src1_sel:DWORD
	v_cmpx_gt_u32_e32 48, v3
	s_cbranch_execz .LBB0_15
; %bb.14:
	v_pk_add_f16 v8, v7, v8
	v_mul_f16_e32 v69, 0xb964, v38
	v_lshrrev_b32_e32 v70, 16, v43
	v_mul_f16_e32 v67, 0xbbf7, v33
	v_lshrrev_b32_e32 v68, 16, v42
	v_pk_add_f16 v8, v8, v21
	v_mul_f16_e32 v61, 0xba62, v32
	v_fmamk_f16 v71, v70, 0x39e9, v69
	v_lshrrev_b32_e32 v63, 16, v41
	v_mov_b32_e32 v96, 0xb964
	v_pk_add_f16 v8, v8, v22
	v_fmamk_f16 v73, v68, 0x2de8, v67
	v_add_f16_sdwa v74, v7, v71 dst_sel:DWORD dst_unused:UNUSED_PAD src0_sel:WORD_1 src1_sel:DWORD
	v_mul_f16_e32 v60, 0xb1e1, v31
	v_mov_b32_e32 v100, 0xbbf7
	v_pk_add_f16 v8, v8, v19
	v_lshrrev_b32_e32 v66, 16, v40
	v_mul_f16_sdwa v72, v38, v96 dst_sel:DWORD dst_unused:UNUSED_PAD src0_sel:WORD_1 src1_sel:DWORD
	v_fmamk_f16 v75, v63, 0xb8d2, v61
	v_add_f16_e32 v73, v73, v74
	v_pk_add_f16 v8, v8, v20
	v_mov_b32_e32 v95, 0xba62
	v_mul_f16_e32 v64, 0x3836, v30
	v_lshrrev_b32_e32 v65, 16, v37
	v_mul_f16_sdwa v71, v33, v100 dst_sel:DWORD dst_unused:UNUSED_PAD src0_sel:WORD_1 src1_sel:DWORD
	v_pk_add_f16 v8, v8, v17
	v_fmamk_f16 v76, v66, 0xbbdd, v60
	v_fma_f16 v77, v43, 0x39e9, -v72
	v_add_f16_e32 v73, v75, v73
	v_mov_b32_e32 v98, 0xb1e1
	v_pk_add_f16 v8, v8, v18
	v_mul_f16_e32 v22, 0x3bb2, v29
	v_lshrrev_b32_e32 v62, 16, v36
	v_mul_f16_sdwa v18, v32, v95 dst_sel:DWORD dst_unused:UNUSED_PAD src0_sel:WORD_1 src1_sel:DWORD
	v_fmamk_f16 v74, v65, 0xbacd, v64
	v_pk_add_f16 v8, v8, v15
	v_add_f16_e32 v75, v7, v77
	v_add_f16_e32 v73, v76, v73
	v_mul_f16_e32 v20, 0x3b29, v27
	v_lshrrev_b32_e32 v21, 16, v35
	v_pk_add_f16 v8, v8, v16
	v_fma_f16 v16, v42, 0x2de8, -v71
	v_mul_f16_sdwa v15, v31, v98 dst_sel:DWORD dst_unused:UNUSED_PAD src0_sel:WORD_1 src1_sel:DWORD
	v_fma_f16 v76, v41, 0xb8d2, -v18
	v_add_f16_e32 v73, v74, v73
	v_pk_add_f16 v8, v8, v13
	v_fmamk_f16 v13, v62, 0xb461, v22
	v_add_f16_e32 v16, v16, v75
	v_fma_f16 v74, v40, 0xbbdd, -v15
	v_mov_b32_e32 v78, 0x3836
	v_pk_add_f16 v8, v8, v14
	v_fmamk_f16 v14, v21, 0x3722, v20
	v_add_f16_e32 v16, v76, v16
	v_add_f16_e32 v13, v13, v73
	v_mul_f16_e32 v79, 0xbb29, v38
	v_pk_add_f16 v8, v8, v11
	v_mov_b32_e32 v103, 0x3bb2
	v_add_f16_e32 v11, v74, v16
	v_add_f16_e32 v73, v14, v13
	v_mul_f16_sdwa v16, v30, v78 dst_sel:DWORD dst_unused:UNUSED_PAD src0_sel:WORD_1 src1_sel:DWORD
	v_pk_add_f16 v13, v8, v12
	v_fmamk_f16 v8, v70, 0x3722, v79
	v_mul_f16_e32 v81, 0xba62, v33
	v_mul_f16_e32 v19, 0x35c8, v28
	v_lshrrev_b32_e32 v17, 16, v34
	v_fma_f16 v74, v37, 0xbacd, -v16
	v_mul_f16_sdwa v14, v29, v103 dst_sel:DWORD dst_unused:UNUSED_PAD src0_sel:WORD_1 src1_sel:DWORD
	v_add_f16_sdwa v8, v7, v8 dst_sel:DWORD dst_unused:UNUSED_PAD src0_sel:WORD_1 src1_sel:DWORD
	v_fmamk_f16 v75, v68, 0xb8d2, v81
	v_mul_f16_e32 v82, 0x31e1, v32
	v_fmamk_f16 v12, v17, 0x3b76, v19
	v_add_f16_e32 v11, v74, v11
	v_fma_f16 v74, v36, 0xb461, -v14
	v_mov_b32_e32 v104, 0x3b29
	v_add_f16_e32 v75, v75, v8
	v_fmamk_f16 v77, v63, 0xbbdd, v82
	v_mul_f16_e32 v76, 0x3bb2, v31
	v_add_f16_e32 v8, v12, v73
	v_add_f16_e32 v11, v74, v11
	v_mul_f16_sdwa v74, v27, v104 dst_sel:DWORD dst_unused:UNUSED_PAD src0_sel:WORD_1 src1_sel:DWORD
	v_add_f16_e32 v12, v77, v75
	v_fmamk_f16 v73, v66, 0xb461, v76
	v_mul_f16_e32 v77, 0x3964, v30
	v_mov_b32_e32 v80, 0xbb29
	v_fma_f16 v83, v35, 0x3722, -v74
	v_mov_b32_e32 v75, 0x35c8
	v_add_f16_e32 v12, v73, v12
	v_fmamk_f16 v85, v65, 0x39e9, v77
	v_mul_f16_sdwa v88, v38, v80 dst_sel:DWORD dst_unused:UNUSED_PAD src0_sel:WORD_1 src1_sel:DWORD
	v_add_f16_e32 v11, v83, v11
	v_mul_f16_e32 v84, 0xb5c8, v29
	v_mul_f16_sdwa v89, v33, v95 dst_sel:DWORD dst_unused:UNUSED_PAD src0_sel:WORD_1 src1_sel:DWORD
	v_add_f16_e32 v12, v85, v12
	v_fma_f16 v83, v43, 0x3722, -v88
	v_mov_b32_e32 v85, 0x31e1
	v_mul_f16_sdwa v73, v28, v75 dst_sel:DWORD dst_unused:UNUSED_PAD src0_sel:WORD_1 src1_sel:DWORD
	v_fmamk_f16 v87, v62, 0x3b76, v84
	v_mul_f16_e32 v86, 0xbbf7, v27
	v_add_f16_e32 v83, v7, v83
	v_fma_f16 v91, v42, 0xb8d2, -v89
	v_mul_f16_sdwa v90, v32, v85 dst_sel:DWORD dst_unused:UNUSED_PAD src0_sel:WORD_1 src1_sel:DWORD
	v_fma_f16 v85, v34, 0x3b76, -v73
	v_add_f16_e32 v12, v87, v12
	v_fmamk_f16 v87, v21, 0x2de8, v86
	v_add_f16_e32 v83, v91, v83
	v_fma_f16 v92, v41, 0xbbdd, -v90
	v_mul_f16_sdwa v91, v31, v103 dst_sel:DWORD dst_unused:UNUSED_PAD src0_sel:WORD_1 src1_sel:DWORD
	v_mov_b32_e32 v105, 0x3964
	v_add_f16_e32 v11, v85, v11
	v_add_f16_e32 v12, v87, v12
	v_add_f16_e32 v85, v92, v83
	v_fma_f16 v87, v40, 0xb461, -v91
	v_mul_f16_sdwa v83, v30, v105 dst_sel:DWORD dst_unused:UNUSED_PAD src0_sel:WORD_1 src1_sel:DWORD
	v_mov_b32_e32 v106, 0xb5c8
	v_mul_f16_e32 v99, 0xbbf7, v38
	v_mul_f16_e32 v107, 0xb1e1, v33
	v_add_f16_e32 v85, v87, v85
	v_fma_f16 v93, v37, 0x39e9, -v83
	v_mul_f16_sdwa v87, v29, v106 dst_sel:DWORD dst_unused:UNUSED_PAD src0_sel:WORD_1 src1_sel:DWORD
	v_fmamk_f16 v97, v70, 0x2de8, v99
	v_fmamk_f16 v102, v68, 0xbbdd, v107
	v_mul_f16_e32 v108, 0x3bb2, v32
	v_add_f16_e32 v93, v93, v85
	v_fma_f16 v101, v36, 0x3b76, -v87
	v_add_f16_sdwa v97, v7, v97 dst_sel:DWORD dst_unused:UNUSED_PAD src0_sel:WORD_1 src1_sel:DWORD
	v_mul_f16_e32 v92, 0xb836, v28
	v_mul_f16_sdwa v110, v38, v100 dst_sel:DWORD dst_unused:UNUSED_PAD src0_sel:WORD_1 src1_sel:DWORD
	v_mul_f16_sdwa v85, v27, v100 dst_sel:DWORD dst_unused:UNUSED_PAD src0_sel:WORD_1 src1_sel:DWORD
	v_add_f16_e32 v93, v101, v93
	v_add_f16_e32 v101, v102, v97
	v_fmamk_f16 v102, v63, 0xb461, v108
	v_mul_f16_e32 v97, 0x35c8, v31
	v_fmamk_f16 v94, v17, 0xbacd, v92
	v_mul_f16_e32 v111, 0xbb29, v30
	v_fma_f16 v112, v43, 0x2de8, -v110
	v_add_f16_e32 v101, v102, v101
	v_fmamk_f16 v102, v66, 0x3b76, v97
	v_mul_f16_sdwa v113, v33, v98 dst_sel:DWORD dst_unused:UNUSED_PAD src0_sel:WORD_1 src1_sel:DWORD
	v_add_f16_e32 v12, v94, v12
	v_fma_f16 v94, v35, 0x2de8, -v85
	v_mov_b32_e32 v109, 0xb836
	v_add_f16_e32 v101, v102, v101
	v_fmamk_f16 v114, v65, 0x3722, v111
	v_mul_f16_e32 v115, 0xb836, v29
	v_add_f16_e32 v112, v7, v112
	v_fma_f16 v116, v42, 0xbbdd, -v113
	v_mul_f16_sdwa v102, v32, v103 dst_sel:DWORD dst_unused:UNUSED_PAD src0_sel:WORD_1 src1_sel:DWORD
	v_add_f16_e32 v94, v94, v93
	v_mul_f16_sdwa v93, v28, v109 dst_sel:DWORD dst_unused:UNUSED_PAD src0_sel:WORD_1 src1_sel:DWORD
	v_add_f16_e32 v114, v114, v101
	v_fmamk_f16 v117, v62, 0xbacd, v115
	v_mul_f16_e32 v101, 0x3a62, v27
	v_add_f16_e32 v112, v116, v112
	v_fma_f16 v116, v41, 0xb461, -v102
	v_mul_f16_sdwa v118, v31, v75 dst_sel:DWORD dst_unused:UNUSED_PAD src0_sel:WORD_1 src1_sel:DWORD
	v_fma_f16 v75, v34, 0xbacd, -v93
	v_add_f16_e32 v114, v117, v114
	v_fmamk_f16 v117, v21, 0xb8d2, v101
	v_add_f16_e32 v112, v116, v112
	v_fma_f16 v116, v40, 0x3b76, -v118
	v_mul_f16_e32 v119, 0xbbb2, v38
	v_add_f16_e32 v75, v75, v94
	v_mul_f16_sdwa v120, v30, v80 dst_sel:DWORD dst_unused:UNUSED_PAD src0_sel:WORD_1 src1_sel:DWORD
	v_add_f16_e32 v94, v117, v114
	v_add_f16_e32 v112, v116, v112
	v_fmamk_f16 v114, v70, 0xb461, v119
	v_mul_f16_e32 v116, 0x3836, v33
	v_fma_f16 v117, v37, 0x3722, -v120
	v_mul_f16_sdwa v121, v29, v109 dst_sel:DWORD dst_unused:UNUSED_PAD src0_sel:WORD_1 src1_sel:DWORD
	v_mov_b32_e32 v122, 0x3a62
	v_add_f16_sdwa v114, v7, v114 dst_sel:DWORD dst_unused:UNUSED_PAD src0_sel:WORD_1 src1_sel:DWORD
	v_fmamk_f16 v123, v68, 0xbacd, v116
	v_mul_f16_e32 v124, 0x3964, v32
	v_add_f16_e32 v112, v117, v112
	v_fma_f16 v117, v36, 0xbacd, -v121
	v_mul_f16_sdwa v125, v27, v122 dst_sel:DWORD dst_unused:UNUSED_PAD src0_sel:WORD_1 src1_sel:DWORD
	v_add_f16_e32 v114, v123, v114
	v_fmamk_f16 v123, v63, 0x39e9, v124
	v_mul_f16_e32 v127, 0xbb29, v31
	v_add_f16_e32 v112, v117, v112
	v_fma_f16 v117, v35, 0xb8d2, -v125
	v_mul_f16_e32 v129, 0xb1e1, v30
	v_add_f16_e32 v114, v123, v114
	v_mov_b32_e32 v123, 0xbbb2
	v_fmamk_f16 v128, v66, 0x3722, v127
	v_add_f16_e32 v112, v117, v112
	v_mul_f16_e32 v131, 0x3bf7, v29
	v_mul_f16_sdwa v134, v33, v78 dst_sel:DWORD dst_unused:UNUSED_PAD src0_sel:WORD_1 src1_sel:DWORD
	v_mul_f16_sdwa v117, v38, v123 dst_sel:DWORD dst_unused:UNUSED_PAD src0_sel:WORD_1 src1_sel:DWORD
	v_add_f16_e32 v114, v128, v114
	v_fmamk_f16 v128, v65, 0xbbdd, v129
	v_mul_f16_e32 v126, 0x3964, v28
	v_mul_f16_sdwa v132, v28, v105 dst_sel:DWORD dst_unused:UNUSED_PAD src0_sel:WORD_1 src1_sel:DWORD
	v_fma_f16 v133, v43, 0xb461, -v117
	v_fma_f16 v135, v42, 0xbacd, -v134
	v_add_f16_e32 v78, v128, v114
	v_fmamk_f16 v114, v62, 0x2de8, v131
	v_mul_f16_e32 v128, 0xb5c8, v27
	v_add_f16_e32 v133, v7, v133
	v_mul_f16_sdwa v136, v32, v105 dst_sel:DWORD dst_unused:UNUSED_PAD src0_sel:WORD_1 src1_sel:DWORD
	v_fmamk_f16 v130, v17, 0x39e9, v126
	v_fma_f16 v137, v34, 0x39e9, -v132
	v_add_f16_e32 v114, v114, v78
	v_fmamk_f16 v138, v21, 0x3b76, v128
	v_add_f16_e32 v133, v135, v133
	v_fma_f16 v135, v41, 0x39e9, -v136
	v_mul_f16_sdwa v139, v31, v80 dst_sel:DWORD dst_unused:UNUSED_PAD src0_sel:WORD_1 src1_sel:DWORD
	v_add_f16_e32 v78, v130, v94
	v_add_f16_e32 v80, v137, v112
	;; [unrolled: 1-line block ×4, first 2 shown]
	v_fma_f16 v114, v40, 0x3722, -v139
	v_mul_f16_sdwa v130, v30, v98 dst_sel:DWORD dst_unused:UNUSED_PAD src0_sel:WORD_1 src1_sel:DWORD
	v_mov_b32_e32 v133, 0x3bf7
	v_mul_f16_e32 v135, 0xba62, v38
	v_mul_f16_e32 v137, 0xba62, v28
	v_add_f16_e32 v112, v114, v112
	v_fma_f16 v114, v37, 0xbbdd, -v130
	v_mul_f16_sdwa v138, v29, v133 dst_sel:DWORD dst_unused:UNUSED_PAD src0_sel:WORD_1 src1_sel:DWORD
	v_fmamk_f16 v140, v70, 0xb8d2, v135
	v_mul_f16_e32 v141, 0x3bb2, v33
	v_fmamk_f16 v142, v17, 0xb8d2, v137
	v_add_f16_e32 v112, v114, v112
	v_fma_f16 v114, v36, 0x2de8, -v138
	v_add_f16_sdwa v140, v7, v140 dst_sel:DWORD dst_unused:UNUSED_PAD src0_sel:WORD_1 src1_sel:DWORD
	v_fmamk_f16 v143, v68, 0xb461, v141
	v_mul_f16_e32 v144, 0xb5c8, v32
	v_add_f16_e32 v94, v142, v94
	v_mul_f16_sdwa v142, v27, v106 dst_sel:DWORD dst_unused:UNUSED_PAD src0_sel:WORD_1 src1_sel:DWORD
	v_add_f16_e32 v112, v114, v112
	v_add_f16_e32 v114, v143, v140
	v_fmamk_f16 v140, v63, 0x3b76, v144
	v_mul_f16_e32 v143, 0xb836, v31
	v_fma_f16 v145, v35, 0x3b76, -v142
	v_mul_f16_sdwa v147, v38, v95 dst_sel:DWORD dst_unused:UNUSED_PAD src0_sel:WORD_1 src1_sel:DWORD
	v_mul_f16_sdwa v146, v28, v95 dst_sel:DWORD dst_unused:UNUSED_PAD src0_sel:WORD_1 src1_sel:DWORD
	v_add_f16_e32 v95, v140, v114
	v_fmamk_f16 v114, v66, 0xbacd, v143
	v_mul_f16_e32 v140, 0x3bf7, v30
	v_add_f16_e32 v112, v145, v112
	v_fma_f16 v145, v43, 0xb8d2, -v147
	v_mul_f16_sdwa v103, v33, v103 dst_sel:DWORD dst_unused:UNUSED_PAD src0_sel:WORD_1 src1_sel:DWORD
	v_add_f16_e32 v95, v114, v95
	v_fmamk_f16 v114, v65, 0x2de8, v140
	v_mul_f16_e32 v148, 0xb964, v29
	v_add_f16_e32 v145, v7, v145
	v_fma_f16 v149, v42, 0xb461, -v103
	v_mul_f16_sdwa v150, v32, v106 dst_sel:DWORD dst_unused:UNUSED_PAD src0_sel:WORD_1 src1_sel:DWORD
	v_fma_f16 v151, v34, 0xb8d2, -v146
	v_add_f16_e32 v114, v114, v95
	v_fmamk_f16 v152, v62, 0x39e9, v148
	v_add_f16_e32 v145, v149, v145
	v_fma_f16 v149, v41, 0x3b76, -v150
	v_mul_f16_sdwa v153, v31, v109 dst_sel:DWORD dst_unused:UNUSED_PAD src0_sel:WORD_1 src1_sel:DWORD
	v_add_f16_e32 v95, v151, v112
	v_mul_f16_e32 v112, 0xb1e1, v27
	v_add_f16_e32 v114, v152, v114
	v_add_f16_e32 v145, v149, v145
	v_fma_f16 v149, v40, 0xbacd, -v153
	v_mul_f16_sdwa v133, v30, v133 dst_sel:DWORD dst_unused:UNUSED_PAD src0_sel:WORD_1 src1_sel:DWORD
	v_fmamk_f16 v151, v21, 0xbbdd, v112
	v_mul_f16_e32 v154, 0xb836, v38
	v_mul_f16_sdwa v155, v29, v96 dst_sel:DWORD dst_unused:UNUSED_PAD src0_sel:WORD_1 src1_sel:DWORD
	v_add_f16_e32 v145, v149, v145
	v_fma_f16 v149, v37, 0x2de8, -v133
	v_add_f16_e32 v96, v151, v114
	v_fmamk_f16 v114, v70, 0xbacd, v154
	v_mul_f16_e32 v151, 0x3b29, v33
	v_fma_f16 v154, v70, 0xbacd, -v154
	v_mul_f16_e32 v152, 0x3b29, v28
	v_add_f16_e32 v145, v149, v145
	v_fma_f16 v149, v36, 0x39e9, -v155
	v_mul_f16_sdwa v156, v27, v98 dst_sel:DWORD dst_unused:UNUSED_PAD src0_sel:WORD_1 src1_sel:DWORD
	v_add_f16_sdwa v114, v7, v114 dst_sel:DWORD dst_unused:UNUSED_PAD src0_sel:WORD_1 src1_sel:DWORD
	v_fmamk_f16 v157, v68, 0x3722, v151
	v_mul_f16_e32 v158, 0xbbf7, v32
	v_add_f16_sdwa v154, v7, v154 dst_sel:DWORD dst_unused:UNUSED_PAD src0_sel:WORD_1 src1_sel:DWORD
	v_fma_f16 v151, v68, 0x3722, -v151
	v_fmamk_f16 v159, v17, 0x3722, v152
	v_add_f16_e32 v145, v149, v145
	v_fma_f16 v149, v35, 0xbbdd, -v156
	v_add_f16_e32 v114, v157, v114
	v_fmamk_f16 v157, v63, 0x2de8, v158
	v_mul_f16_e32 v160, 0x3a62, v31
	v_mul_f16_sdwa v109, v38, v109 dst_sel:DWORD dst_unused:UNUSED_PAD src0_sel:WORD_1 src1_sel:DWORD
	v_add_f16_e32 v151, v151, v154
	v_fma_f16 v154, v63, 0x2de8, -v158
	v_add_f16_e32 v96, v159, v96
	v_add_f16_e32 v145, v149, v145
	;; [unrolled: 1-line block ×3, first 2 shown]
	v_fmamk_f16 v149, v66, 0xb8d2, v160
	v_mul_f16_e32 v157, 0xb5c8, v30
	v_mul_f16_sdwa v159, v28, v104 dst_sel:DWORD dst_unused:UNUSED_PAD src0_sel:WORD_1 src1_sel:DWORD
	v_fma_f16 v161, v43, 0xbacd, -v109
	v_mul_f16_sdwa v104, v33, v104 dst_sel:DWORD dst_unused:UNUSED_PAD src0_sel:WORD_1 src1_sel:DWORD
	v_fmac_f16_e32 v109, 0xbacd, v43
	v_add_f16_e32 v151, v154, v151
	v_fma_f16 v154, v66, 0xb8d2, -v160
	v_add_f16_e32 v114, v149, v114
	v_fmamk_f16 v149, v65, 0x3b76, v157
	v_mul_f16_e32 v162, 0xb1e1, v29
	v_add_f16_e32 v161, v7, v161
	v_fma_f16 v163, v42, 0x3722, -v104
	v_mul_f16_sdwa v100, v32, v100 dst_sel:DWORD dst_unused:UNUSED_PAD src0_sel:WORD_1 src1_sel:DWORD
	v_fma_f16 v164, v34, 0x3722, -v159
	v_add_f16_e32 v109, v7, v109
	v_fmac_f16_e32 v104, 0x3722, v42
	v_add_f16_e32 v151, v154, v151
	v_fma_f16 v154, v65, 0x3b76, -v157
	v_add_f16_e32 v114, v149, v114
	v_fmamk_f16 v149, v62, 0xbbdd, v162
	v_add_f16_e32 v161, v163, v161
	v_fma_f16 v163, v41, 0x2de8, -v100
	v_mul_f16_sdwa v122, v31, v122 dst_sel:DWORD dst_unused:UNUSED_PAD src0_sel:WORD_1 src1_sel:DWORD
	v_add_f16_e32 v145, v164, v145
	v_mul_f16_e32 v164, 0x3964, v27
	v_add_f16_e32 v104, v104, v109
	v_fmac_f16_e32 v100, 0x2de8, v41
	v_add_f16_e32 v109, v154, v151
	v_fma_f16 v151, v62, 0xbbdd, -v162
	v_fma_f16 v135, v70, 0xb8d2, -v135
	v_add_f16_e32 v114, v149, v114
	v_add_f16_e32 v149, v163, v161
	v_fma_f16 v161, v40, 0xb8d2, -v122
	v_mul_f16_sdwa v106, v30, v106 dst_sel:DWORD dst_unused:UNUSED_PAD src0_sel:WORD_1 src1_sel:DWORD
	v_mul_f16_e32 v165, 0xbbb2, v28
	v_add_f16_e32 v100, v100, v104
	v_fmac_f16_e32 v122, 0xb8d2, v40
	v_add_f16_e32 v104, v151, v109
	v_fma_f16 v109, v21, 0x39e9, -v164
	v_add_f16_sdwa v135, v7, v135 dst_sel:DWORD dst_unused:UNUSED_PAD src0_sel:WORD_1 src1_sel:DWORD
	v_fma_f16 v141, v68, 0xb461, -v141
	v_add_f16_e32 v149, v161, v149
	v_fma_f16 v161, v37, 0x3b76, -v106
	v_mul_f16_sdwa v98, v29, v98 dst_sel:DWORD dst_unused:UNUSED_PAD src0_sel:WORD_1 src1_sel:DWORD
	v_add_f16_e32 v100, v122, v100
	v_fmac_f16_e32 v106, 0x3b76, v37
	v_add_f16_e32 v104, v109, v104
	v_fma_f16 v109, v17, 0xb461, -v165
	v_add_f16_e32 v122, v141, v135
	v_fma_f16 v135, v63, 0x3b76, -v144
	v_fma_f16 v99, v70, 0x2de8, -v99
	v_add_f16_e32 v149, v161, v149
	v_fma_f16 v161, v36, 0xbbdd, -v98
	v_add_f16_e32 v100, v106, v100
	v_fmac_f16_e32 v98, 0xbbdd, v36
	v_add_f16_e32 v104, v109, v104
	v_fmac_f16_e32 v147, 0xb8d2, v43
	v_add_f16_e32 v106, v135, v122
	v_fma_f16 v109, v66, 0xbacd, -v143
	v_add_f16_sdwa v99, v7, v99 dst_sel:DWORD dst_unused:UNUSED_PAD src0_sel:WORD_1 src1_sel:DWORD
	v_fma_f16 v107, v68, 0xbbdd, -v107
	v_add_f16_e32 v98, v98, v100
	v_add_f16_e32 v100, v7, v147
	v_fmac_f16_e32 v103, 0xb461, v42
	v_add_f16_e32 v106, v109, v106
	v_fma_f16 v109, v65, 0x2de8, -v140
	v_add_f16_e32 v99, v107, v99
	v_fma_f16 v107, v63, 0xb461, -v108
	v_fmac_f16_e32 v110, 0x2de8, v43
	v_fma_f16 v69, v70, 0x39e9, -v69
	v_add_f16_e32 v100, v103, v100
	v_add_f16_e32 v103, v109, v106
	v_fma_f16 v109, v68, 0xbacd, -v116
	v_add_f16_e32 v99, v107, v99
	v_fma_f16 v97, v66, 0x3b76, -v97
	v_add_f16_e32 v107, v7, v110
	v_fmac_f16_e32 v113, 0xbbdd, v42
	v_fma_f16 v81, v68, 0xb8d2, -v81
	v_fma_f16 v67, v68, 0x2de8, -v67
	v_add_f16_sdwa v68, v7, v69 dst_sel:DWORD dst_unused:UNUSED_PAD src0_sel:WORD_1 src1_sel:DWORD
	v_mul_f16_sdwa v105, v27, v105 dst_sel:DWORD dst_unused:UNUSED_PAD src0_sel:WORD_1 src1_sel:DWORD
	v_add_f16_e32 v97, v97, v99
	v_fma_f16 v99, v65, 0x3722, -v111
	v_add_f16_e32 v107, v113, v107
	v_fmac_f16_e32 v102, 0xb461, v41
	v_add_f16_e32 v67, v67, v68
	v_fma_f16 v61, v63, 0xb8d2, -v61
	v_fma_f16 v158, v35, 0x39e9, -v105
	v_fmac_f16_e32 v105, 0x39e9, v35
	v_add_f16_e32 v97, v99, v97
	v_fma_f16 v99, v62, 0xbacd, -v115
	v_fma_f16 v79, v70, 0x3722, -v79
	v_add_f16_e32 v102, v102, v107
	v_fmac_f16_e32 v118, 0x3b76, v40
	v_add_f16_e32 v61, v61, v67
	v_fma_f16 v60, v66, 0xbbdd, -v60
	v_fmac_f16_e32 v72, 0x39e9, v43
	v_add_f16_e32 v98, v105, v98
	v_fma_f16 v105, v62, 0x39e9, -v148
	v_fma_f16 v106, v70, 0xb461, -v119
	v_add_f16_e32 v97, v99, v97
	v_fma_f16 v99, v21, 0xb8d2, -v101
	v_add_f16_sdwa v79, v7, v79 dst_sel:DWORD dst_unused:UNUSED_PAD src0_sel:WORD_1 src1_sel:DWORD
	v_add_f16_e32 v101, v118, v102
	v_fmac_f16_e32 v120, 0x3722, v37
	v_add_f16_e32 v60, v60, v61
	v_fma_f16 v61, v65, 0xbacd, -v64
	v_add_f16_e32 v64, v7, v72
	v_fmac_f16_e32 v71, 0x2de8, v42
	v_bfi_b32 v47, 0xffff, v51, v47
	v_add_f16_e32 v103, v105, v103
	v_fma_f16 v105, v21, 0xbbdd, -v112
	v_add_f16_sdwa v106, v7, v106 dst_sel:DWORD dst_unused:UNUSED_PAD src0_sel:WORD_1 src1_sel:DWORD
	v_add_f16_e32 v79, v81, v79
	v_fma_f16 v81, v63, 0xbbdd, -v82
	v_add_f16_e32 v82, v120, v101
	v_fmac_f16_e32 v121, 0xbacd, v36
	v_fmac_f16_e32 v88, 0x3722, v43
	v_add_f16_e32 v60, v61, v60
	v_add_f16_e32 v61, v71, v64
	v_fmac_f16_e32 v18, 0xb8d2, v41
	v_bfi_b32 v44, 0xffff, v45, v44
	v_pk_add_f16 v45, v7, v47
	v_add_f16_e32 v103, v105, v103
	v_fma_f16 v105, v17, 0x3722, -v152
	v_add_f16_e32 v106, v109, v106
	v_fma_f16 v109, v63, 0x39e9, -v124
	;; [unrolled: 2-line block ×3, first 2 shown]
	v_add_f16_e32 v81, v121, v82
	v_add_f16_e32 v82, v7, v88
	v_fmac_f16_e32 v89, 0xb8d2, v42
	v_add_f16_e32 v18, v18, v61
	v_fmac_f16_e32 v15, 0xbbdd, v40
	v_bfi_b32 v51, 0xffff, v59, v58
	v_pk_add_f16 v44, v44, v45
	v_add_f16_e32 v103, v105, v103
	v_add_f16_e32 v105, v109, v106
	v_fma_f16 v106, v66, 0x3722, -v127
	v_add_f16_e32 v76, v76, v79
	v_fma_f16 v70, v65, 0x39e9, -v77
	v_add_f16_e32 v77, v89, v82
	v_fmac_f16_e32 v90, 0xbbdd, v41
	v_fma_f16 v22, v62, 0xb461, -v22
	v_add_f16_e32 v15, v15, v18
	v_fmac_f16_e32 v16, 0xbacd, v37
	v_bfi_b32 v18, 0xffff, v56, v52
	v_pk_add_f16 v44, v51, v44
	v_add_f16_e32 v105, v106, v105
	v_fma_f16 v106, v65, 0xbbdd, -v129
	v_add_f16_e32 v70, v70, v76
	v_fma_f16 v76, v62, 0x3b76, -v84
	v_add_f16_e32 v77, v90, v77
	v_fmac_f16_e32 v91, 0xb461, v40
	v_add_f16_e32 v22, v22, v60
	v_fma_f16 v20, v21, 0x3722, -v20
	v_add_f16_e32 v15, v16, v15
	v_bfi_b32 v16, 0xffff, v57, v53
	v_pk_add_f16 v18, v18, v44
	v_add_f16_e32 v105, v106, v105
	v_fma_f16 v106, v62, 0x2de8, -v131
	v_add_f16_e32 v63, v76, v70
	v_fma_f16 v68, v21, 0x2de8, -v86
	v_add_f16_e32 v70, v91, v77
	v_fmac_f16_e32 v83, 0x39e9, v37
	v_fmac_f16_e32 v14, 0xb461, v36
	v_add_f16_e32 v20, v20, v22
	v_bfi_b32 v22, 0xffff, v54, v48
	v_pk_add_f16 v16, v16, v18
	v_fmamk_f16 v163, v21, 0x39e9, v164
	v_add_f16_e32 v105, v106, v105
	v_fma_f16 v106, v21, 0x3b76, -v128
	v_add_f16_e32 v63, v68, v63
	v_fma_f16 v66, v17, 0xbacd, -v92
	v_add_f16_e32 v67, v83, v70
	v_fmac_f16_e32 v87, 0x3b76, v36
	v_add_f16_e32 v14, v14, v15
	v_bfi_b32 v15, 0xffff, v55, v49
	v_pk_add_f16 v9, v13, v9
	v_pk_add_f16 v13, v22, v16
	v_add_f16_e32 v114, v163, v114
	v_fmamk_f16 v163, v17, 0xb461, v165
	v_add_f16_e32 v105, v106, v105
	v_fma_f16 v106, v17, 0xb8d2, -v137
	v_add_f16_e32 v97, v99, v97
	v_fma_f16 v99, v17, 0x39e9, -v126
	v_add_f16_e32 v63, v66, v63
	v_add_f16_e32 v66, v87, v67
	v_fmac_f16_e32 v85, 0x2de8, v35
	v_fma_f16 v16, v17, 0x3b76, -v19
	v_bfi_b32 v17, 0xffff, v50, v46
	v_pk_add_f16 v9, v9, v10
	v_pk_add_f16 v10, v15, v13
	v_pk_mul_f16 v13, 0xbbdd, v43 op_sel_hi:[0,1]
	v_add_f16_e32 v47, v85, v66
	v_fmac_f16_e32 v93, 0xbacd, v34
	v_lshl_add_u32 v15, v3, 6, v0
	v_pk_add_f16 v9, v9, v39
	v_pk_add_f16 v10, v17, v10
	v_pk_fma_f16 v17, 0xb1e1, v38, v13 op_sel:[0,0,1] op_sel_hi:[0,1,0]
	v_alignbit_b32 v18, s0, v7, 16
	v_pk_mul_f16 v19, 0x3b76, v42 op_sel_hi:[0,1]
	v_fmac_f16_e32 v117, 0xb461, v43
	v_add_f16_e32 v21, v93, v47
	ds_write2_b32 v15, v9, v10 offset1:1
	v_pk_add_f16 v9, v18, v17
	v_pk_fma_f16 v10, 0x35c8, v33, v19 op_sel:[0,0,1] op_sel_hi:[0,1,0]
	v_pk_mul_f16 v18, 0xbacd, v41 op_sel_hi:[0,1]
	v_pk_fma_f16 v13, 0xb1e1, v38, v13 op_sel:[0,0,1] op_sel_hi:[0,1,0] neg_lo:[0,1,0] neg_hi:[0,1,0]
	v_alignbit_b32 v17, s0, v17, 16
	v_add_f16_e32 v109, v7, v117
	v_fmac_f16_e32 v134, 0xbacd, v42
	v_add_f16_e32 v16, v16, v20
	v_pack_b32_f16 v20, v21, v63
	v_pk_add_f16 v9, v10, v9
	v_pk_fma_f16 v21, 0xb836, v32, v18 op_sel:[0,0,1] op_sel_hi:[0,1,0]
	v_pk_mul_f16 v22, 0x39e9, v40 op_sel_hi:[0,1]
	v_pk_add_f16 v13, v7, v13 op_sel:[1,0] op_sel_hi:[0,1]
	v_pk_fma_f16 v19, 0x35c8, v33, v19 op_sel:[0,0,1] op_sel_hi:[0,1,0] neg_lo:[0,1,0] neg_hi:[0,1,0]
	v_pk_add_f16 v7, v7, v17
	v_alignbit_b32 v10, s0, v10, 16
	v_add_f16_e32 v109, v134, v109
	v_fmac_f16_e32 v136, 0x39e9, v41
	v_fmac_f16_e32 v150, 0x3b76, v41
	v_pk_fma_f16 v39, 0x3964, v31, v22 op_sel:[0,0,1] op_sel_hi:[0,1,0]
	v_pk_mul_f16 v17, 0xb8d2, v37 op_sel_hi:[0,1]
	v_pk_add_f16 v13, v19, v13
	v_pk_fma_f16 v18, 0xb836, v32, v18 op_sel:[0,0,1] op_sel_hi:[0,1,0] neg_lo:[0,1,0] neg_hi:[0,1,0]
	v_pk_add_f16 v7, v10, v7
	v_alignbit_b32 v10, s0, v21, 16
	v_add_f16_e32 v109, v136, v109
	v_fmac_f16_e32 v139, 0x3722, v40
	v_add_f16_e32 v100, v150, v100
	v_fmac_f16_e32 v153, 0xbacd, v40
	v_pk_add_f16 v9, v21, v9
	v_pk_fma_f16 v19, 0xba62, v30, v17 op_sel:[0,0,1] op_sel_hi:[0,1,0]
	v_pk_mul_f16 v21, 0x3722, v36 op_sel_hi:[0,1]
	v_pk_add_f16 v13, v18, v13
	v_pk_fma_f16 v18, 0x3964, v31, v22 op_sel:[0,0,1] op_sel_hi:[0,1,0] neg_lo:[0,1,0] neg_hi:[0,1,0]
	v_pk_add_f16 v7, v10, v7
	v_alignbit_b32 v10, s0, v39, 16
	v_add_f16_e32 v109, v139, v109
	v_fmac_f16_e32 v130, 0xbbdd, v37
	v_add_f16_e32 v100, v153, v100
	v_fmac_f16_e32 v133, 0x2de8, v37
	v_pk_add_f16 v9, v39, v9
	v_pk_fma_f16 v22, 0x3b29, v29, v21 op_sel:[0,0,1] op_sel_hi:[0,1,0]
	v_pk_add_f16 v13, v18, v13
	v_pk_fma_f16 v17, 0xba62, v30, v17 op_sel:[0,0,1] op_sel_hi:[0,1,0] neg_lo:[0,1,0] neg_hi:[0,1,0]
	v_pk_add_f16 v7, v10, v7
	v_alignbit_b32 v10, s0, v19, 16
	v_pk_mul_f16 v18, 0xb461, v35 op_sel_hi:[0,1]
	v_add_f16_e32 v108, v130, v109
	v_fmac_f16_e32 v138, 0x2de8, v36
	v_add_f16_e32 v100, v133, v100
	v_fmac_f16_e32 v155, 0x39e9, v36
	v_pk_add_f16 v9, v19, v9
	v_pk_add_f16 v13, v17, v13
	v_pk_fma_f16 v17, 0x3b29, v29, v21 op_sel:[0,0,1] op_sel_hi:[0,1,0] neg_lo:[0,1,0] neg_hi:[0,1,0]
	v_pk_add_f16 v7, v10, v7
	v_alignbit_b32 v10, s0, v22, 16
	v_pk_fma_f16 v19, 0xbbb2, v27, v18 op_sel:[0,0,1] op_sel_hi:[0,1,0]
	v_pk_mul_f16 v21, 0x2de8, v34 op_sel_hi:[0,1]
	v_fmac_f16_e32 v74, 0x3722, v35
	v_add_f16_e32 v105, v106, v105
	v_add_f16_e32 v106, v138, v108
	v_fmac_f16_e32 v142, 0x3b76, v35
	v_fmac_f16_e32 v125, 0xb8d2, v35
	v_mul_f16_sdwa v123, v28, v123 dst_sel:DWORD dst_unused:UNUSED_PAD src0_sel:WORD_1 src1_sel:DWORD
	v_add_f16_e32 v100, v155, v100
	v_fmac_f16_e32 v156, 0xbbdd, v35
	v_pk_add_f16 v9, v22, v9
	v_pk_add_f16 v13, v17, v13
	v_pk_fma_f16 v17, 0xbbb2, v27, v18 op_sel:[0,0,1] op_sel_hi:[0,1,0] neg_lo:[0,1,0] neg_hi:[0,1,0]
	v_pk_add_f16 v7, v10, v7
	v_alignbit_b32 v10, s0, v19, 16
	v_pk_fma_f16 v18, 0x3bf7, v28, v21 op_sel:[0,0,1] op_sel_hi:[0,1,0]
	v_add_f16_e32 v149, v161, v149
	v_add_f16_e32 v14, v74, v14
	v_fmac_f16_e32 v73, 0x3b76, v34
	v_add_f16_e32 v106, v142, v106
	v_fmac_f16_e32 v146, 0xb8d2, v34
	;; [unrolled: 2-line block ×3, first 2 shown]
	v_fma_f16 v157, v34, 0xb461, -v123
	v_fmac_f16_e32 v123, 0xb461, v34
	v_add_f16_e32 v100, v156, v100
	v_fmac_f16_e32 v159, 0x3722, v34
	v_pk_add_f16 v9, v19, v9
	v_pk_add_f16 v13, v17, v13
	v_pk_fma_f16 v17, 0x3bf7, v28, v21 op_sel:[0,0,1] op_sel_hi:[0,1,0] neg_lo:[0,1,0] neg_hi:[0,1,0]
	v_pk_add_f16 v7, v10, v7
	v_alignbit_b32 v10, s0, v18, 16
	v_add_f16_e32 v149, v158, v149
	v_add_f16_e32 v14, v73, v14
	;; [unrolled: 1-line block ×7, first 2 shown]
	v_pk_add_f16 v9, v18, v9
	v_pk_add_f16 v13, v17, v13
	;; [unrolled: 1-line block ×3, first 2 shown]
	v_add_f16_e32 v114, v163, v114
	v_add_f16_e32 v149, v157, v149
	v_pack_b32_f16 v14, v14, v16
	v_pack_b32_f16 v16, v106, v105
	;; [unrolled: 1-line block ×5, first 2 shown]
	v_alignbit_b32 v9, v9, v13, 16
	v_pack_b32_f16 v7, v7, v13
	v_pack_b32_f16 v10, v145, v96
	;; [unrolled: 1-line block ×3, first 2 shown]
	ds_write2_b32 v15, v14, v20 offset0:2 offset1:3
	ds_write2_b32 v15, v38, v16 offset0:4 offset1:5
	;; [unrolled: 1-line block ×3, first 2 shown]
	v_pack_b32_f16 v14, v80, v78
	v_pack_b32_f16 v16, v95, v94
	;; [unrolled: 1-line block ×4, first 2 shown]
	v_perm_b32 v12, v23, v4, 0x5040100
	ds_write2_b32 v15, v7, v9 offset0:8 offset1:9
	ds_write2_b32 v15, v13, v10 offset0:10 offset1:11
	;; [unrolled: 1-line block ×4, first 2 shown]
	ds_write_b32 v15, v12 offset:64
.LBB0_15:
	s_or_b32 exec_lo, exec_lo, s1
	v_add_nc_u16 v30, v3, 0xcc
	v_add_nc_u32_e32 v27, 0xff, v3
	v_add_nc_u16 v36, v3, 0x99
	v_mov_b32_e32 v10, 0xf0f1
	v_add_nc_u16 v35, v3, 0x66
	v_add_nc_u16 v34, v3, 51
	v_and_b32_e32 v31, 0xff, v30
	v_add_nc_u32_e32 v28, 0x132, v3
	v_add_nc_u32_e32 v29, 0x165, v3
	v_and_b32_e32 v11, 0xff, v36
	v_mul_u32_u24_sdwa v12, v27, v10 dst_sel:DWORD dst_unused:UNUSED_PAD src0_sel:WORD_0 src1_sel:DWORD
	v_and_b32_e32 v9, 0xff, v35
	v_and_b32_e32 v8, 0xff, v34
	;; [unrolled: 1-line block ×3, first 2 shown]
	v_mul_lo_u16 v14, 0xf1, v31
	v_mul_u32_u24_sdwa v15, v28, v10 dst_sel:DWORD dst_unused:UNUSED_PAD src0_sel:WORD_0 src1_sel:DWORD
	v_mul_u32_u24_sdwa v10, v29, v10 dst_sel:DWORD dst_unused:UNUSED_PAD src0_sel:WORD_0 src1_sel:DWORD
	v_mul_lo_u16 v38, 0xf1, v11
	v_lshrrev_b32_e32 v43, 20, v12
	v_mul_lo_u16 v37, 0xf1, v9
	v_mul_lo_u16 v13, 0xf1, v8
	;; [unrolled: 1-line block ×3, first 2 shown]
	v_lshrrev_b16 v46, 12, v14
	v_lshrrev_b32_e32 v44, 20, v15
	v_lshrrev_b32_e32 v45, 20, v10
	v_lshrrev_b16 v47, 12, v38
	v_mul_lo_u16 v10, v43, 17
	v_lshrrev_b16 v42, 12, v37
	v_lshrrev_b16 v41, 12, v13
	;; [unrolled: 1-line block ×3, first 2 shown]
	v_mul_lo_u16 v15, v46, 17
	v_mul_lo_u16 v11, v44, 17
	v_mov_b32_e32 v32, 2
	v_sub_nc_u16 v10, v27, v10
	v_mul_lo_u16 v16, v47, 17
	v_mul_lo_u16 v9, v42, 17
	;; [unrolled: 1-line block ×5, first 2 shown]
	v_sub_nc_u16 v15, v30, v15
	v_sub_nc_u16 v11, v28, v11
	v_lshlrev_b32_sdwa v48, v32, v10 dst_sel:DWORD dst_unused:UNUSED_PAD src0_sel:DWORD src1_sel:WORD_0
	v_sub_nc_u16 v10, v36, v16
	v_sub_nc_u16 v9, v35, v9
	;; [unrolled: 1-line block ×5, first 2 shown]
	v_lshlrev_b32_sdwa v51, v32, v15 dst_sel:DWORD dst_unused:UNUSED_PAD src0_sel:DWORD src1_sel:BYTE_0
	v_lshlrev_b32_sdwa v49, v32, v11 dst_sel:DWORD dst_unused:UNUSED_PAD src0_sel:DWORD src1_sel:WORD_0
	v_lshlrev_b32_sdwa v55, v32, v10 dst_sel:DWORD dst_unused:UNUSED_PAD src0_sel:DWORD src1_sel:BYTE_0
	v_lshlrev_b32_sdwa v50, v32, v12 dst_sel:DWORD dst_unused:UNUSED_PAD src0_sel:DWORD src1_sel:WORD_0
	v_lshlrev_b32_sdwa v56, v32, v9 dst_sel:DWORD dst_unused:UNUSED_PAD src0_sel:DWORD src1_sel:BYTE_0
	v_lshlrev_b32_sdwa v57, v32, v8 dst_sel:DWORD dst_unused:UNUSED_PAD src0_sel:DWORD src1_sel:BYTE_0
	;; [unrolled: 1-line block ×3, first 2 shown]
	s_load_dwordx2 s[2:3], s[2:3], 0x0
	s_waitcnt lgkmcnt(0)
	s_barrier
	buffer_gl0_inv
	s_clause 0x7
	global_load_dword v52, v48, s[12:13]
	global_load_dword v53, v49, s[12:13]
	;; [unrolled: 1-line block ×8, first 2 shown]
	ds_read2_b32 v[7:8], v0 offset1:51
	ds_read2_b32 v[9:10], v24 offset0:152 offset1:203
	ds_read2_b32 v[11:12], v0 offset0:102 offset1:153
	;; [unrolled: 1-line block ×7, first 2 shown]
	v_mov_b32_e32 v26, 0x88
	v_mul_u32_u24_e32 v43, 0x88, v43
	v_mul_u32_u24_e32 v44, 0x88, v44
	;; [unrolled: 1-line block ×3, first 2 shown]
	v_add_nc_u32_e32 v64, 0x200, v0
	v_mul_u32_u24_sdwa v33, v33, v26 dst_sel:DWORD dst_unused:UNUSED_PAD src0_sel:WORD_0 src1_sel:DWORD
	v_mul_u32_u24_sdwa v41, v41, v26 dst_sel:DWORD dst_unused:UNUSED_PAD src0_sel:WORD_0 src1_sel:DWORD
	;; [unrolled: 1-line block ×5, first 2 shown]
	v_add3_u32 v43, 0, v43, v48
	v_add3_u32 v41, 0, v41, v57
	v_add3_u32 v44, 0, v44, v49
	v_add3_u32 v46, 0, v47, v55
	v_add3_u32 v47, 0, v26, v51
	v_add3_u32 v42, 0, v42, v56
	v_add3_u32 v45, 0, v45, v50
	v_add3_u32 v33, 0, v33, v58
	s_waitcnt vmcnt(0) lgkmcnt(0)
	s_barrier
	buffer_gl0_inv
	v_cmp_gt_u32_e64 s0, 17, v3
	v_pk_mul_f16 v50, v39, v59 op_sel:[0,1]
	v_pk_mul_f16 v49, v40, v52 op_sel:[0,1]
	;; [unrolled: 1-line block ×8, first 2 shown]
	v_pk_fma_f16 v58, v22, v54, v26 op_sel:[0,0,1] op_sel_hi:[1,1,0]
	v_pk_fma_f16 v22, v22, v54, v26 op_sel:[0,0,1] op_sel_hi:[1,0,0] neg_lo:[0,0,1] neg_hi:[0,0,1]
	v_pk_fma_f16 v26, v21, v53, v48 op_sel:[0,0,1] op_sel_hi:[1,1,0]
	v_pk_fma_f16 v21, v21, v53, v48 op_sel:[0,0,1] op_sel_hi:[1,0,0] neg_lo:[0,0,1] neg_hi:[0,0,1]
	;; [unrolled: 2-line block ×8, first 2 shown]
	v_bfi_b32 v9, 0xffff, v53, v9
	v_bfi_b32 v10, 0xffff, v52, v10
	;; [unrolled: 1-line block ×8, first 2 shown]
	v_pk_add_f16 v9, v7, v9 neg_lo:[0,1] neg_hi:[0,1]
	v_pk_add_f16 v10, v8, v10 neg_lo:[0,1] neg_hi:[0,1]
	;; [unrolled: 1-line block ×8, first 2 shown]
	v_pk_fma_f16 v7, v7, 2.0, v9 op_sel_hi:[1,0,1] neg_lo:[0,0,1] neg_hi:[0,0,1]
	v_pk_fma_f16 v8, v8, 2.0, v10 op_sel_hi:[1,0,1] neg_lo:[0,0,1] neg_hi:[0,0,1]
	;; [unrolled: 1-line block ×8, first 2 shown]
	ds_write2_b32 v33, v7, v9 offset1:17
	ds_write2_b32 v41, v8, v10 offset1:17
	;; [unrolled: 1-line block ×8, first 2 shown]
	s_waitcnt lgkmcnt(0)
	s_barrier
	buffer_gl0_inv
	ds_read2_b32 v[7:8], v0 offset1:51
	ds_read2_b32 v[11:12], v64 offset0:76 offset1:144
	ds_read2_b32 v[17:18], v25 offset0:32 offset1:83
	;; [unrolled: 1-line block ×6, first 2 shown]
	ds_read_b32 v39, v0 offset:2992
	v_lshrrev_b32_e32 v24, 16, v26
                                        ; implicit-def: $vgpr33
                                        ; implicit-def: $vgpr25
	s_and_saveexec_b32 s1, s0
	s_cbranch_execz .LBB0_17
; %bb.16:
	ds_read_b32 v26, v0 offset:1020
	ds_read_b32 v4, v0 offset:2108
	;; [unrolled: 1-line block ×3, first 2 shown]
	s_waitcnt lgkmcnt(2)
	v_lshrrev_b32_e32 v24, 16, v26
	s_waitcnt lgkmcnt(1)
	v_lshrrev_b32_e32 v23, 16, v4
	;; [unrolled: 2-line block ×3, first 2 shown]
.LBB0_17:
	s_or_b32 exec_lo, exec_lo, s1
	v_lshrrev_b16 v46, 13, v14
	v_subrev_nc_u32_e32 v14, 34, v3
	v_cmp_gt_u32_e64 s1, 34, v3
	v_lshrrev_b16 v48, 13, v13
	v_lshrrev_b16 v50, 13, v37
	v_mul_lo_u16 v40, v46, 34
	v_mov_b32_e32 v42, 3
	v_cndmask_b32_e64 v47, v14, v3, s1
	v_mov_b32_e32 v14, 0
	v_mul_lo_u16 v37, v48, 34
	v_sub_nc_u16 v49, v30, v40
	v_mul_lo_u16 v44, v50, 34
	v_lshlrev_b32_e32 v13, 1, v47
	v_mov_b32_e32 v66, 0x198
	v_sub_nc_u16 v51, v34, v37
	v_lshlrev_b32_sdwa v43, v42, v49 dst_sel:DWORD dst_unused:UNUSED_PAD src0_sel:DWORD src1_sel:BYTE_0
	v_sub_nc_u16 v52, v35, v44
	v_lshlrev_b64 v[40:41], 2, v[13:14]
	v_lshrrev_b16 v13, 13, v38
	v_lshlrev_b32_sdwa v44, v42, v51 dst_sel:DWORD dst_unused:UNUSED_PAD src0_sel:DWORD src1_sel:BYTE_0
	global_load_dwordx2 v[37:38], v43, s[12:13] offset:68
	s_waitcnt lgkmcnt(1)
	v_lshrrev_b32_e32 v59, 16, v22
	s_waitcnt lgkmcnt(0)
	v_lshrrev_b32_e32 v60, 16, v39
	v_add_co_u32 v40, s1, s12, v40
	v_add_co_ci_u32_e64 v41, s1, s13, v41, s1
	v_mul_u32_u24_sdwa v48, v48, v66 dst_sel:DWORD dst_unused:UNUSED_PAD src0_sel:WORD_0 src1_sel:DWORD
	v_mul_u32_u24_sdwa v50, v50, v66 dst_sel:DWORD dst_unused:UNUSED_PAD src0_sel:WORD_0 src1_sel:DWORD
	;; [unrolled: 1-line block ×3, first 2 shown]
	s_clause 0x1
	global_load_dwordx2 v[34:35], v[40:41], off offset:68
	global_load_dwordx2 v[40:41], v44, s[12:13] offset:68
	v_mul_lo_u16 v43, v13, 34
	v_mul_u32_u24_sdwa v13, v13, v66 dst_sel:DWORD dst_unused:UNUSED_PAD src0_sel:WORD_0 src1_sel:DWORD
	v_lshlrev_b32_sdwa v51, v32, v51 dst_sel:DWORD dst_unused:UNUSED_PAD src0_sel:DWORD src1_sel:BYTE_0
	v_cmp_lt_u32_e64 s1, 33, v3
	v_lshrrev_b32_e32 v61, 16, v12
	v_sub_nc_u16 v36, v36, v43
	v_lshlrev_b32_sdwa v43, v42, v52 dst_sel:DWORD dst_unused:UNUSED_PAD src0_sel:DWORD src1_sel:BYTE_0
	v_lshlrev_b32_sdwa v52, v32, v52 dst_sel:DWORD dst_unused:UNUSED_PAD src0_sel:DWORD src1_sel:BYTE_0
	v_lshrrev_b32_e32 v62, 16, v17
	v_add3_u32 v48, 0, v48, v51
	v_lshlrev_b32_sdwa v44, v42, v36 dst_sel:DWORD dst_unused:UNUSED_PAD src0_sel:DWORD src1_sel:BYTE_0
	s_clause 0x1
	global_load_dwordx2 v[42:43], v43, s[12:13] offset:68
	global_load_dwordx2 v[44:45], v44, s[12:13] offset:68
	v_lshlrev_b32_sdwa v36, v32, v36 dst_sel:DWORD dst_unused:UNUSED_PAD src0_sel:DWORD src1_sel:BYTE_0
	v_lshlrev_b32_sdwa v32, v32, v49 dst_sel:DWORD dst_unused:UNUSED_PAD src0_sel:DWORD src1_sel:BYTE_0
	v_add3_u32 v49, 0, v50, v52
	v_lshrrev_b32_e32 v63, 16, v19
	v_lshrrev_b32_e32 v64, 16, v18
	v_add3_u32 v13, 0, v13, v36
	v_add3_u32 v32, 0, v46, v32
	v_lshrrev_b32_e32 v65, 16, v20
	v_lshrrev_b32_e32 v67, 16, v15
	v_cndmask_b32_e64 v69, 0, 0x198, s1
	v_lshlrev_b32_e32 v47, 2, v47
	v_lshrrev_b32_e32 v57, 16, v16
	v_lshrrev_b32_e32 v58, 16, v11
	;; [unrolled: 1-line block ×4, first 2 shown]
	v_add3_u32 v47, 0, v69, v47
	v_lshrrev_b32_e32 v54, 16, v8
	v_lshrrev_b32_e32 v55, 16, v9
	;; [unrolled: 1-line block ×3, first 2 shown]
	s_waitcnt vmcnt(0)
	s_barrier
	buffer_gl0_inv
	v_mul_f16_sdwa v36, v59, v37 dst_sel:DWORD dst_unused:UNUSED_PAD src0_sel:DWORD src1_sel:WORD_1
	v_mul_f16_sdwa v46, v22, v37 dst_sel:DWORD dst_unused:UNUSED_PAD src0_sel:DWORD src1_sel:WORD_1
	;; [unrolled: 1-line block ×4, first 2 shown]
	v_fmac_f16_e32 v36, v22, v37
	v_fma_f16 v22, v59, v37, -v46
	v_fmac_f16_e32 v50, v39, v38
	v_fma_f16 v37, v60, v38, -v51
	v_mul_f16_sdwa v38, v34, v61 dst_sel:DWORD dst_unused:UNUSED_PAD src0_sel:WORD_1 src1_sel:DWORD
	v_mul_f16_sdwa v39, v34, v12 dst_sel:DWORD dst_unused:UNUSED_PAD src0_sel:WORD_1 src1_sel:DWORD
	;; [unrolled: 1-line block ×8, first 2 shown]
	v_add_f16_e32 v80, v58, v22
	v_fmac_f16_e32 v38, v34, v12
	v_fma_f16 v12, v34, v61, -v39
	v_fmac_f16_e32 v46, v35, v17
	v_fma_f16 v17, v35, v62, -v51
	;; [unrolled: 2-line block ×3, first 2 shown]
	v_mul_f16_sdwa v69, v42, v65 dst_sel:DWORD dst_unused:UNUSED_PAD src0_sel:WORD_1 src1_sel:DWORD
	v_mul_f16_sdwa v70, v42, v20 dst_sel:DWORD dst_unused:UNUSED_PAD src0_sel:WORD_1 src1_sel:DWORD
	;; [unrolled: 1-line block ×6, first 2 shown]
	v_mul_f16_sdwa v75, v57, v45 dst_sel:DWORD dst_unused:UNUSED_PAD src0_sel:DWORD src1_sel:WORD_1
	v_mul_f16_sdwa v76, v16, v45 dst_sel:DWORD dst_unused:UNUSED_PAD src0_sel:DWORD src1_sel:WORD_1
	v_fmac_f16_e32 v60, v41, v18
	v_fma_f16 v18, v41, v64, -v66
	v_fmac_f16_e32 v69, v42, v20
	v_fma_f16 v20, v42, v65, -v70
	;; [unrolled: 2-line block ×3, first 2 shown]
	v_add_f16_e32 v77, v11, v36
	v_sub_f16_e32 v79, v22, v37
	v_add_f16_e32 v22, v22, v37
	v_fmac_f16_e32 v73, v44, v21
	v_fma_f16 v21, v44, v68, -v74
	v_fmac_f16_e32 v75, v16, v45
	v_fma_f16 v16, v57, v45, -v76
	v_add_f16_e32 v35, v80, v37
	v_add_f16_e32 v37, v38, v46
	v_sub_f16_e32 v39, v12, v17
	v_add_f16_e32 v40, v53, v12
	v_add_f16_e32 v12, v12, v17
	v_add_f16_e32 v42, v52, v60
	v_sub_f16_e32 v43, v19, v18
	v_add_f16_e32 v44, v54, v19
	;; [unrolled: 4-line block ×3, first 2 shown]
	v_sub_f16_e32 v52, v20, v15
	v_add_f16_e32 v57, v55, v20
	v_add_f16_e32 v20, v20, v15
	;; [unrolled: 1-line block ×3, first 2 shown]
	v_sub_f16_e32 v36, v36, v50
	v_add_f16_e32 v34, v77, v50
	v_fmac_f16_e32 v58, -0.5, v22
	v_add_f16_e32 v22, v7, v38
	v_sub_f16_e32 v38, v38, v46
	v_add_f16_e32 v62, v73, v75
	v_sub_f16_e32 v63, v21, v16
	v_add_f16_e32 v64, v56, v21
	v_add_f16_e32 v21, v21, v16
	v_fma_f16 v7, -0.5, v37, v7
	v_fmac_f16_e32 v53, -0.5, v12
	v_add_f16_e32 v50, v9, v69
	v_fmac_f16_e32 v8, -0.5, v42
	v_fmac_f16_e32 v54, -0.5, v19
	v_sub_f16_e32 v59, v69, v71
	v_add_f16_e32 v61, v10, v73
	v_fma_f16 v9, -0.5, v51, v9
	v_fmac_f16_e32 v55, -0.5, v20
	v_fmac_f16_e32 v11, -0.5, v78
	v_sub_f16_e32 v65, v73, v75
	v_fmamk_f16 v67, v36, 0x3aee, v58
	v_fmac_f16_e32 v58, 0xbaee, v36
	v_pack_b32_f16 v34, v34, v35
	v_add_f16_e32 v22, v22, v46
	v_add_f16_e32 v17, v40, v17
	;; [unrolled: 1-line block ×4, first 2 shown]
	v_fmac_f16_e32 v10, -0.5, v62
	v_fmac_f16_e32 v56, -0.5, v21
	v_fmamk_f16 v35, v39, 0xbaee, v7
	v_fmamk_f16 v36, v38, 0x3aee, v53
	v_fmac_f16_e32 v7, 0x3aee, v39
	v_fmac_f16_e32 v53, 0xbaee, v38
	v_add_f16_e32 v19, v50, v71
	v_add_f16_e32 v15, v57, v15
	v_fmamk_f16 v37, v43, 0xbaee, v8
	v_fmamk_f16 v38, v45, 0x3aee, v54
	v_fmac_f16_e32 v8, 0x3aee, v43
	v_fmac_f16_e32 v54, 0xbaee, v45
	v_add_f16_e32 v20, v61, v75
	v_add_f16_e32 v16, v64, v16
	v_fmamk_f16 v39, v52, 0xbaee, v9
	v_fmamk_f16 v40, v59, 0x3aee, v55
	;; [unrolled: 1-line block ×3, first 2 shown]
	v_fmac_f16_e32 v11, 0x3aee, v79
	v_fmac_f16_e32 v9, 0x3aee, v52
	;; [unrolled: 1-line block ×3, first 2 shown]
	v_fmamk_f16 v41, v63, 0xbaee, v10
	v_fmac_f16_e32 v10, 0x3aee, v63
	v_fmamk_f16 v42, v65, 0x3aee, v56
	v_fmac_f16_e32 v56, 0xbaee, v65
	v_pack_b32_f16 v17, v22, v17
	v_pack_b32_f16 v12, v12, v18
	v_pack_b32_f16 v18, v35, v36
	v_pack_b32_f16 v7, v7, v53
	v_pack_b32_f16 v15, v19, v15
	v_pack_b32_f16 v19, v37, v38
	v_pack_b32_f16 v8, v8, v54
	v_pack_b32_f16 v16, v20, v16
	v_pack_b32_f16 v20, v39, v40
	v_pack_b32_f16 v21, v66, v67
	v_pack_b32_f16 v11, v11, v58
	v_pack_b32_f16 v9, v9, v55
	v_pack_b32_f16 v22, v41, v42
	v_pack_b32_f16 v10, v10, v56
	ds_write2_b32 v47, v17, v18 offset1:34
	ds_write_b32 v47, v7 offset:272
	ds_write2_b32 v48, v12, v19 offset1:34
	ds_write_b32 v48, v8 offset:272
	;; [unrolled: 2-line block ×5, first 2 shown]
	s_and_saveexec_b32 s1, s0
	s_cbranch_execz .LBB0_19
; %bb.18:
	v_mov_b32_e32 v7, 0xf0f1
	v_mul_u32_u24_sdwa v7, v27, v7 dst_sel:DWORD dst_unused:UNUSED_PAD src0_sel:WORD_0 src1_sel:DWORD
	v_lshrrev_b32_e32 v7, 21, v7
	v_mul_lo_u16 v7, v7, 34
	v_sub_nc_u16 v7, v27, v7
	v_and_b32_e32 v9, 0xffff, v7
	v_lshlrev_b32_e32 v7, 3, v9
	global_load_dwordx2 v[7:8], v7, s[12:13] offset:68
	s_waitcnt vmcnt(0)
	v_mul_f16_sdwa v10, v25, v8 dst_sel:DWORD dst_unused:UNUSED_PAD src0_sel:DWORD src1_sel:WORD_1
	v_mul_f16_sdwa v11, v4, v7 dst_sel:DWORD dst_unused:UNUSED_PAD src0_sel:DWORD src1_sel:WORD_1
	;; [unrolled: 1-line block ×4, first 2 shown]
	v_fma_f16 v10, v33, v8, -v10
	v_fma_f16 v11, v23, v7, -v11
	v_fmac_f16_e32 v12, v4, v7
	v_fmac_f16_e32 v13, v25, v8
	v_lshl_add_u32 v4, v9, 2, 0
	v_add_f16_e32 v7, v11, v10
	v_add_f16_e32 v8, v24, v11
	;; [unrolled: 1-line block ×4, first 2 shown]
	v_sub_f16_e32 v12, v12, v13
	v_fmac_f16_e32 v24, -0.5, v7
	v_sub_f16_e32 v7, v11, v10
	v_fmac_f16_e32 v26, -0.5, v9
	v_add_f16_e32 v8, v8, v10
	v_add_f16_e32 v9, v15, v13
	v_fmamk_f16 v10, v12, 0xbaee, v24
	v_fmac_f16_e32 v24, 0x3aee, v12
	v_fmamk_f16 v11, v7, 0x3aee, v26
	v_fmac_f16_e32 v26, 0xbaee, v7
	v_add_nc_u32_e32 v7, 0x800, v4
	v_pack_b32_f16 v8, v9, v8
	v_pack_b32_f16 v10, v11, v10
	;; [unrolled: 1-line block ×3, first 2 shown]
	ds_write2_b32 v7, v8, v9 offset0:202 offset1:236
	ds_write_b32 v4, v10 offset:3128
.LBB0_19:
	s_or_b32 exec_lo, exec_lo, s1
	v_mov_b32_e32 v8, 0xa0a1
	v_mul_lo_u16 v7, 0xa1, v31
	v_mov_b32_e32 v4, v14
	s_waitcnt lgkmcnt(0)
	s_barrier
	v_mul_u32_u24_sdwa v10, v27, v8 dst_sel:DWORD dst_unused:UNUSED_PAD src0_sel:WORD_0 src1_sel:DWORD
	v_lshrrev_b16 v9, 14, v7
	v_mul_u32_u24_sdwa v11, v28, v8 dst_sel:DWORD dst_unused:UNUSED_PAD src0_sel:WORD_0 src1_sel:DWORD
	v_mul_u32_u24_sdwa v12, v29, v8 dst_sel:DWORD dst_unused:UNUSED_PAD src0_sel:WORD_0 src1_sel:DWORD
	v_lshlrev_b64 v[7:8], 2, v[3:4]
	v_lshrrev_b32_e32 v13, 22, v10
	v_mul_lo_u16 v4, 0x66, v9
	v_lshrrev_b32_e32 v11, 22, v11
	v_lshrrev_b32_e32 v12, 22, v12
	buffer_gl0_inv
	v_add_co_u32 v9, s0, s12, v7
	v_add_co_ci_u32_e64 v10, s0, s13, v8, s0
	v_mul_lo_u16 v13, 0x66, v13
	v_mul_lo_u16 v11, 0x66, v11
	;; [unrolled: 1-line block ×3, first 2 shown]
	v_sub_nc_u16 v4, v30, v4
	v_mov_b32_e32 v14, 2
	global_load_dword v30, v[9:10], off offset:340
	v_sub_nc_u16 v13, v27, v13
	v_sub_nc_u16 v11, v28, v11
	v_sub_nc_u16 v12, v29, v12
	v_lshlrev_b32_sdwa v4, v14, v4 dst_sel:DWORD dst_unused:UNUSED_PAD src0_sel:DWORD src1_sel:BYTE_0
	v_add_nc_u32_e32 v36, 0x400, v0
	v_lshlrev_b32_sdwa v27, v14, v13 dst_sel:DWORD dst_unused:UNUSED_PAD src0_sel:DWORD src1_sel:WORD_0
	v_lshlrev_b32_sdwa v28, v14, v11 dst_sel:DWORD dst_unused:UNUSED_PAD src0_sel:DWORD src1_sel:WORD_0
	;; [unrolled: 1-line block ×3, first 2 shown]
	s_clause 0x4
	global_load_dword v31, v4, s[12:13] offset:340
	global_load_dword v32, v27, s[12:13] offset:340
	;; [unrolled: 1-line block ×4, first 2 shown]
	global_load_dword v35, v[9:10], off offset:544
	v_add_nc_u32_e32 v37, 0x600, v0
	ds_read2_b32 v[11:12], v36 offset0:152 offset1:203
	ds_read2_b32 v[13:14], v37 offset0:126 offset1:177
	v_add_nc_u32_e32 v38, 0x800, v0
	ds_read2_b32 v[15:16], v0 offset1:51
	ds_read2_b32 v[17:18], v0 offset0:102 offset1:153
	ds_read2_b32 v[19:20], v0 offset0:204 offset1:255
	;; [unrolled: 1-line block ×5, first 2 shown]
	v_add_nc_u32_e32 v4, 0, v4
	v_add_nc_u32_e32 v29, 0, v29
	;; [unrolled: 1-line block ×4, first 2 shown]
	s_waitcnt vmcnt(0) lgkmcnt(0)
	v_add_nc_u32_e32 v4, 0x400, v4
	v_add_nc_u32_e32 v29, 0x800, v29
	s_barrier
	buffer_gl0_inv
	v_add_nc_u32_e32 v27, 0x400, v27
	v_add_nc_u32_e32 v28, 0x800, v28
	s_add_u32 s1, s12, 0xc7c
	s_addc_u32 s4, s13, 0
	s_mov_b32 s5, exec_lo
	v_pk_mul_f16 v39, v30, v11 op_sel:[0,1]
	v_pk_mul_f16 v40, v30, v13 op_sel:[0,1]
	v_pk_fma_f16 v41, v30, v11, v39 op_sel:[0,0,1] op_sel_hi:[1,1,0]
	v_pk_fma_f16 v11, v30, v11, v39 op_sel:[0,0,1] op_sel_hi:[1,0,0] neg_lo:[1,0,0] neg_hi:[1,0,0]
	v_pk_fma_f16 v39, v30, v13, v40 op_sel:[0,0,1] op_sel_hi:[1,1,0]
	v_pk_fma_f16 v13, v30, v13, v40 op_sel:[0,0,1] op_sel_hi:[1,0,0] neg_lo:[1,0,0] neg_hi:[1,0,0]
	v_pk_mul_f16 v30, v21, v31 op_sel:[0,1]
	v_pk_mul_f16 v40, v35, v14 op_sel:[0,1]
	v_bfi_b32 v11, 0xffff, v41, v11
	v_pk_mul_f16 v41, v26, v34 op_sel:[0,1]
	v_bfi_b32 v13, 0xffff, v39, v13
	v_pk_mul_f16 v39, v35, v12 op_sel:[0,1]
	v_pk_mul_f16 v42, v25, v33 op_sel:[0,1]
	;; [unrolled: 1-line block ×3, first 2 shown]
	v_pk_fma_f16 v44, v21, v31, v30 op_sel:[0,0,1] op_sel_hi:[1,1,0]
	v_pk_fma_f16 v21, v21, v31, v30 op_sel:[0,0,1] op_sel_hi:[1,0,0] neg_lo:[0,0,1] neg_hi:[0,0,1]
	v_pk_fma_f16 v30, v35, v12, v39 op_sel:[0,0,1] op_sel_hi:[1,1,0]
	v_pk_fma_f16 v12, v35, v12, v39 op_sel:[0,0,1] op_sel_hi:[1,0,0] neg_lo:[1,0,0] neg_hi:[1,0,0]
	;; [unrolled: 2-line block ×6, first 2 shown]
	v_bfi_b32 v12, 0xffff, v30, v12
	v_bfi_b32 v14, 0xffff, v31, v14
	;; [unrolled: 1-line block ×6, first 2 shown]
	v_pk_add_f16 v11, v15, v11 neg_lo:[0,1] neg_hi:[0,1]
	v_pk_add_f16 v12, v16, v12 neg_lo:[0,1] neg_hi:[0,1]
	;; [unrolled: 1-line block ×8, first 2 shown]
	v_pk_fma_f16 v15, v15, 2.0, v11 op_sel_hi:[1,0,1] neg_lo:[0,0,1] neg_hi:[0,0,1]
	v_pk_fma_f16 v16, v16, 2.0, v12 op_sel_hi:[1,0,1] neg_lo:[0,0,1] neg_hi:[0,0,1]
	;; [unrolled: 1-line block ×8, first 2 shown]
	ds_write2_b32 v0, v11, v12 offset0:102 offset1:153
	ds_write2_b32 v36, v13, v14 offset0:50 offset1:101
	ds_write2_b32 v0, v15, v16 offset1:51
	ds_write2_b32 v0, v17, v18 offset0:204 offset1:255
	ds_write2_b32 v4, v19, v21 offset0:152 offset1:254
	;; [unrolled: 1-line block ×5, first 2 shown]
	s_waitcnt lgkmcnt(0)
	s_barrier
	buffer_gl0_inv
	s_clause 0x3
	global_load_dword v4, v[9:10], off offset:748
	global_load_dword v29, v[9:10], off offset:952
	;; [unrolled: 1-line block ×4, first 2 shown]
	ds_read2_b32 v[11:12], v36 offset0:152 offset1:203
	ds_read2_b32 v[13:14], v37 offset0:126 offset1:177
	;; [unrolled: 1-line block ×4, first 2 shown]
	ds_read2_b32 v[21:22], v0 offset1:51
	ds_read2_b32 v[23:24], v0 offset0:102 offset1:153
	ds_read2_b32 v[25:26], v0 offset0:204 offset1:255
	ds_read2_b32 v[27:28], v36 offset0:50 offset1:101
	v_add_co_u32 v19, s0, 0x800, v9
	v_add_co_ci_u32_e64 v20, s0, 0, v10, s0
	s_waitcnt vmcnt(0) lgkmcnt(0)
	s_barrier
	buffer_gl0_inv
	v_pk_mul_f16 v32, v4, v11 op_sel:[0,1]
	v_pk_mul_f16 v33, v29, v12 op_sel:[0,1]
	;; [unrolled: 1-line block ×8, first 2 shown]
	v_pk_fma_f16 v43, v4, v11, v32 op_sel:[0,0,1] op_sel_hi:[1,1,0]
	v_pk_fma_f16 v11, v4, v11, v32 op_sel:[0,0,1] op_sel_hi:[1,0,0] neg_lo:[1,0,0] neg_hi:[1,0,0]
	v_pk_fma_f16 v32, v29, v12, v33 op_sel:[0,0,1] op_sel_hi:[1,1,0]
	v_pk_fma_f16 v12, v29, v12, v33 op_sel:[0,0,1] op_sel_hi:[1,0,0] neg_lo:[1,0,0] neg_hi:[1,0,0]
	;; [unrolled: 2-line block ×8, first 2 shown]
	v_bfi_b32 v11, 0xffff, v43, v11
	v_bfi_b32 v12, 0xffff, v32, v12
	;; [unrolled: 1-line block ×8, first 2 shown]
	v_pk_add_f16 v11, v21, v11 neg_lo:[0,1] neg_hi:[0,1]
	v_pk_add_f16 v12, v22, v12 neg_lo:[0,1] neg_hi:[0,1]
	;; [unrolled: 1-line block ×8, first 2 shown]
	v_pk_fma_f16 v18, v21, 2.0, v11 op_sel_hi:[1,0,1] neg_lo:[0,0,1] neg_hi:[0,0,1]
	v_pk_fma_f16 v21, v22, 2.0, v12 op_sel_hi:[1,0,1] neg_lo:[0,0,1] neg_hi:[0,0,1]
	;; [unrolled: 1-line block ×8, first 2 shown]
	ds_write2_b32 v0, v11, v12 offset0:204 offset1:255
	ds_write2_b32 v36, v13, v14 offset0:50 offset1:101
	;; [unrolled: 1-line block ×4, first 2 shown]
	ds_write2_b32 v0, v18, v21 offset1:51
	ds_write2_b32 v0, v22, v23 offset0:102 offset1:153
	ds_write2_b32 v36, v24, v25 offset0:152 offset1:203
	;; [unrolled: 1-line block ×3, first 2 shown]
	s_waitcnt lgkmcnt(0)
	s_barrier
	buffer_gl0_inv
	s_clause 0x7
	global_load_dword v4, v[19:20], off offset:536
	global_load_dword v25, v[19:20], off offset:740
	;; [unrolled: 1-line block ×8, first 2 shown]
	ds_read2_b32 v[9:10], v36 offset0:152 offset1:203
	ds_read2_b32 v[11:12], v37 offset0:126 offset1:177
	;; [unrolled: 1-line block ×4, first 2 shown]
	ds_read2_b32 v[17:18], v0 offset1:51
	ds_read2_b32 v[19:20], v0 offset0:102 offset1:153
	ds_read2_b32 v[21:22], v0 offset0:204 offset1:255
	;; [unrolled: 1-line block ×3, first 2 shown]
	s_waitcnt vmcnt(0) lgkmcnt(0)
	s_barrier
	buffer_gl0_inv
	v_pk_mul_f16 v40, v14, v4 op_sel:[0,1]
	v_pk_mul_f16 v41, v15, v25 op_sel:[0,1]
	v_pk_mul_f16 v42, v16, v26 op_sel:[0,1]
	v_pk_mul_f16 v32, v27, v9 op_sel:[0,1]
	v_pk_mul_f16 v33, v28, v10 op_sel:[0,1]
	v_pk_mul_f16 v34, v29, v11 op_sel:[0,1]
	v_pk_mul_f16 v35, v30, v12 op_sel:[0,1]
	v_pk_mul_f16 v39, v13, v31 op_sel:[0,1]
	v_pk_fma_f16 v43, v27, v9, v32 op_sel:[0,0,1] op_sel_hi:[1,1,0]
	v_pk_fma_f16 v9, v27, v9, v32 op_sel:[0,0,1] op_sel_hi:[1,0,0] neg_lo:[1,0,0] neg_hi:[1,0,0]
	v_pk_fma_f16 v27, v28, v10, v33 op_sel:[0,0,1] op_sel_hi:[1,1,0]
	v_pk_fma_f16 v10, v28, v10, v33 op_sel:[0,0,1] op_sel_hi:[1,0,0] neg_lo:[1,0,0] neg_hi:[1,0,0]
	;; [unrolled: 2-line block ×8, first 2 shown]
	v_bfi_b32 v9, 0xffff, v43, v9
	v_bfi_b32 v10, 0xffff, v27, v10
	;; [unrolled: 1-line block ×8, first 2 shown]
	v_pk_add_f16 v9, v17, v9 neg_lo:[0,1] neg_hi:[0,1]
	v_pk_add_f16 v10, v18, v10 neg_lo:[0,1] neg_hi:[0,1]
	;; [unrolled: 1-line block ×8, first 2 shown]
	v_pk_fma_f16 v16, v17, 2.0, v9 op_sel_hi:[1,0,1] neg_lo:[0,0,1] neg_hi:[0,0,1]
	v_pk_fma_f16 v17, v18, 2.0, v10 op_sel_hi:[1,0,1] neg_lo:[0,0,1] neg_hi:[0,0,1]
	;; [unrolled: 1-line block ×8, first 2 shown]
	ds_write2_b32 v36, v9, v10 offset0:152 offset1:203
	ds_write2_b32 v37, v11, v12 offset0:126 offset1:177
	;; [unrolled: 1-line block ×4, first 2 shown]
	ds_write2_b32 v0, v16, v17 offset1:51
	ds_write2_b32 v0, v18, v19 offset0:102 offset1:153
	ds_write2_b32 v0, v20, v21 offset0:204 offset1:255
	;; [unrolled: 1-line block ×3, first 2 shown]
	s_waitcnt lgkmcnt(0)
	s_barrier
	buffer_gl0_inv
	ds_read_b32 v12, v0
	v_lshlrev_b32_e32 v4, 2, v3
                                        ; implicit-def: $vgpr11
                                        ; implicit-def: $vgpr9
                                        ; implicit-def: $vgpr10
	v_sub_nc_u32_e32 v4, 0, v4
	v_cmpx_ne_u32_e32 0, v3
	s_xor_b32 s5, exec_lo, s5
	s_cbranch_execz .LBB0_21
; %bb.20:
	v_add_co_u32 v9, s0, s1, v7
	v_add_co_ci_u32_e64 v10, s0, s4, v8, s0
	global_load_dword v9, v[9:10], off
	ds_read_b32 v10, v4 offset:3264
	s_waitcnt lgkmcnt(0)
	v_pk_add_f16 v11, v12, v10 neg_lo:[0,1] neg_hi:[0,1]
	v_pk_add_f16 v10, v10, v12
	v_bfi_b32 v12, 0xffff, v11, v10
	v_bfi_b32 v10, 0xffff, v10, v11
	v_pk_mul_f16 v12, v12, 0.5 op_sel_hi:[1,0]
	v_pk_mul_f16 v13, v10, 0.5 op_sel_hi:[1,0]
	s_waitcnt vmcnt(0)
	v_pk_mul_f16 v11, v9, v12 op_sel:[1,0]
	v_pk_mul_f16 v12, v9, v12 op_sel_hi:[0,1]
	v_pk_fma_f16 v9, v10, 0.5, v11 op_sel_hi:[1,0,1]
	v_sub_f16_e32 v10, v13, v11
	v_sub_f16_sdwa v13, v11, v13 dst_sel:DWORD dst_unused:UNUSED_PAD src0_sel:WORD_1 src1_sel:WORD_1
	v_pk_add_f16 v14, v9, v12 op_sel:[0,1] op_sel_hi:[1,0]
	v_pk_add_f16 v15, v9, v12 op_sel:[0,1] op_sel_hi:[1,0] neg_lo:[0,1] neg_hi:[0,1]
	v_sub_f16_sdwa v9, v10, v12 dst_sel:DWORD dst_unused:UNUSED_PAD src0_sel:DWORD src1_sel:WORD_1
	v_sub_f16_e32 v10, v13, v12
                                        ; implicit-def: $vgpr12
	v_bfi_b32 v11, 0xffff, v14, v15
.LBB0_21:
	s_andn2_saveexec_b32 s0, s5
	s_cbranch_execz .LBB0_23
; %bb.22:
	v_mov_b32_e32 v10, 0
	s_waitcnt lgkmcnt(0)
	v_alignbit_b32 v9, s0, v12, 16
	ds_read_u16 v11, v10 offset:1634
	v_pk_add_f16 v13, v9, v12
	v_sub_f16_sdwa v9, v12, v12 dst_sel:DWORD dst_unused:UNUSED_PAD src0_sel:DWORD src1_sel:WORD_1
	s_waitcnt lgkmcnt(0)
	v_xor_b32_e32 v12, 0x8000, v11
	v_pack_b32_f16 v11, v13, 0
	ds_write_b16 v10, v12 offset:1634
.LBB0_23:
	s_or_b32 exec_lo, exec_lo, s0
	v_add_co_u32 v7, s0, s1, v7
	v_add_co_ci_u32_e64 v8, s0, s4, v8, s0
	s_waitcnt lgkmcnt(0)
	s_clause 0x4
	global_load_dword v12, v[7:8], off offset:204
	global_load_dword v13, v[7:8], off offset:408
	;; [unrolled: 1-line block ×5, first 2 shown]
	ds_write_b16 v4, v10 offset:3266
	ds_write_b32 v0, v11
	ds_write_b16 v4, v9 offset:3264
	ds_read_b32 v9, v0 offset:204
	ds_read_b32 v10, v4 offset:3060
	s_clause 0x1
	global_load_dword v11, v[7:8], off offset:1224
	global_load_dword v7, v[7:8], off offset:1428
	s_waitcnt lgkmcnt(0)
	v_pk_add_f16 v17, v9, v10 neg_lo:[0,1] neg_hi:[0,1]
	v_pk_add_f16 v9, v9, v10
	v_bfi_b32 v10, 0xffff, v17, v9
	v_bfi_b32 v9, 0xffff, v9, v17
	v_pk_mul_f16 v10, v10, 0.5 op_sel_hi:[1,0]
	v_pk_mul_f16 v17, v9, 0.5 op_sel_hi:[1,0]
	s_waitcnt vmcnt(6)
	v_pk_mul_f16 v8, v12, v10 op_sel:[1,0]
	v_pk_mul_f16 v10, v12, v10 op_sel_hi:[0,1]
	v_pk_fma_f16 v9, v9, 0.5, v8 op_sel_hi:[1,0,1]
	v_sub_f16_sdwa v12, v8, v17 dst_sel:DWORD dst_unused:UNUSED_PAD src0_sel:WORD_1 src1_sel:WORD_1
	v_sub_f16_e32 v8, v17, v8
	v_pk_add_f16 v18, v9, v10 op_sel:[0,1] op_sel_hi:[1,0]
	v_pk_add_f16 v9, v9, v10 op_sel:[0,1] op_sel_hi:[1,0] neg_lo:[0,1] neg_hi:[0,1]
	v_sub_f16_e32 v12, v12, v10
	v_sub_f16_sdwa v8, v8, v10 dst_sel:DWORD dst_unused:UNUSED_PAD src0_sel:DWORD src1_sel:WORD_1
	v_bfi_b32 v9, 0xffff, v18, v9
	ds_write_b16 v4, v12 offset:3062
	ds_write_b32 v0, v9 offset:204
	ds_write_b16 v4, v8 offset:3060
	ds_read_b32 v8, v0 offset:408
	ds_read_b32 v9, v4 offset:2856
	s_waitcnt lgkmcnt(0)
	v_pk_add_f16 v10, v8, v9 neg_lo:[0,1] neg_hi:[0,1]
	v_pk_add_f16 v8, v8, v9
	v_bfi_b32 v9, 0xffff, v10, v8
	v_bfi_b32 v8, 0xffff, v8, v10
	v_pk_mul_f16 v9, v9, 0.5 op_sel_hi:[1,0]
	v_pk_mul_f16 v12, v8, 0.5 op_sel_hi:[1,0]
	s_waitcnt vmcnt(5)
	v_pk_mul_f16 v10, v13, v9 op_sel:[1,0]
	v_pk_mul_f16 v9, v13, v9 op_sel_hi:[0,1]
	v_pk_fma_f16 v8, v8, 0.5, v10 op_sel_hi:[1,0,1]
	v_sub_f16_sdwa v13, v10, v12 dst_sel:DWORD dst_unused:UNUSED_PAD src0_sel:WORD_1 src1_sel:WORD_1
	v_sub_f16_e32 v10, v12, v10
	v_pk_add_f16 v17, v8, v9 op_sel:[0,1] op_sel_hi:[1,0]
	v_pk_add_f16 v8, v8, v9 op_sel:[0,1] op_sel_hi:[1,0] neg_lo:[0,1] neg_hi:[0,1]
	v_sub_f16_e32 v12, v13, v9
	v_sub_f16_sdwa v9, v10, v9 dst_sel:DWORD dst_unused:UNUSED_PAD src0_sel:DWORD src1_sel:WORD_1
	v_bfi_b32 v8, 0xffff, v17, v8
	ds_write_b16 v4, v12 offset:2858
	ds_write_b32 v0, v8 offset:408
	ds_write_b16 v4, v9 offset:2856
	ds_read_b32 v8, v0 offset:612
	ds_read_b32 v9, v4 offset:2652
	;; [unrolled: 23-line block ×4, first 2 shown]
	s_waitcnt lgkmcnt(0)
	v_pk_add_f16 v10, v8, v9 neg_lo:[0,1] neg_hi:[0,1]
	v_pk_add_f16 v8, v8, v9
	v_bfi_b32 v9, 0xffff, v10, v8
	v_bfi_b32 v8, 0xffff, v8, v10
	v_pk_mul_f16 v9, v9, 0.5 op_sel_hi:[1,0]
	v_pk_mul_f16 v8, v8, 0.5 op_sel_hi:[1,0]
	s_waitcnt vmcnt(2)
	v_pk_mul_f16 v12, v16, v9 op_sel_hi:[0,1]
	v_pk_fma_f16 v10, v16, v9, v8 op_sel:[1,0,0]
	v_pk_fma_f16 v13, v16, v9, v8 op_sel:[1,0,0] neg_lo:[1,0,0] neg_hi:[1,0,0]
	v_pk_fma_f16 v8, v16, v9, v8 op_sel:[1,0,0] neg_lo:[0,0,1] neg_hi:[0,0,1]
	v_pk_add_f16 v9, v10, v12 op_sel:[0,1] op_sel_hi:[1,0]
	v_pk_add_f16 v10, v10, v12 op_sel:[0,1] op_sel_hi:[1,0] neg_lo:[0,1] neg_hi:[0,1]
	v_pk_add_f16 v13, v13, v12 op_sel:[0,1] op_sel_hi:[1,0] neg_lo:[0,1] neg_hi:[0,1]
	;; [unrolled: 1-line block ×3, first 2 shown]
	v_bfi_b32 v9, 0xffff, v9, v10
	v_bfi_b32 v8, 0xffff, v13, v8
	ds_write_b32 v0, v9 offset:1020
	ds_write_b32 v4, v8 offset:2244
	ds_read_b32 v8, v0 offset:1224
	ds_read_b32 v9, v4 offset:2040
	s_waitcnt lgkmcnt(0)
	v_pk_add_f16 v10, v8, v9 neg_lo:[0,1] neg_hi:[0,1]
	v_pk_add_f16 v8, v8, v9
	v_bfi_b32 v9, 0xffff, v10, v8
	v_bfi_b32 v8, 0xffff, v8, v10
	v_pk_mul_f16 v9, v9, 0.5 op_sel_hi:[1,0]
	v_pk_mul_f16 v12, v8, 0.5 op_sel_hi:[1,0]
	s_waitcnt vmcnt(1)
	v_pk_mul_f16 v10, v11, v9 op_sel:[1,0]
	v_pk_mul_f16 v9, v11, v9 op_sel_hi:[0,1]
	v_pk_fma_f16 v8, v8, 0.5, v10 op_sel_hi:[1,0,1]
	v_sub_f16_sdwa v11, v10, v12 dst_sel:DWORD dst_unused:UNUSED_PAD src0_sel:WORD_1 src1_sel:WORD_1
	v_sub_f16_e32 v10, v12, v10
	v_pk_add_f16 v13, v8, v9 op_sel:[0,1] op_sel_hi:[1,0]
	v_pk_add_f16 v8, v8, v9 op_sel:[0,1] op_sel_hi:[1,0] neg_lo:[0,1] neg_hi:[0,1]
	v_sub_f16_e32 v11, v11, v9
	v_sub_f16_sdwa v9, v10, v9 dst_sel:DWORD dst_unused:UNUSED_PAD src0_sel:DWORD src1_sel:WORD_1
	v_bfi_b32 v8, 0xffff, v13, v8
	ds_write_b16 v4, v11 offset:2042
	ds_write_b32 v0, v8 offset:1224
	ds_write_b16 v4, v9 offset:2040
	ds_read_b32 v8, v0 offset:1428
	ds_read_b32 v9, v4 offset:1836
	s_waitcnt lgkmcnt(0)
	v_pk_add_f16 v10, v8, v9 neg_lo:[0,1] neg_hi:[0,1]
	v_pk_add_f16 v8, v8, v9
	v_bfi_b32 v9, 0xffff, v10, v8
	v_bfi_b32 v8, 0xffff, v8, v10
	v_pk_mul_f16 v9, v9, 0.5 op_sel_hi:[1,0]
	v_pk_mul_f16 v8, v8, 0.5 op_sel_hi:[1,0]
	s_waitcnt vmcnt(0)
	v_pk_mul_f16 v11, v7, v9 op_sel_hi:[0,1]
	v_pk_fma_f16 v10, v7, v9, v8 op_sel:[1,0,0]
	v_pk_fma_f16 v12, v7, v9, v8 op_sel:[1,0,0] neg_lo:[1,0,0] neg_hi:[1,0,0]
	v_pk_fma_f16 v7, v7, v9, v8 op_sel:[1,0,0] neg_lo:[0,0,1] neg_hi:[0,0,1]
	v_pk_add_f16 v8, v10, v11 op_sel:[0,1] op_sel_hi:[1,0]
	v_pk_add_f16 v9, v10, v11 op_sel:[0,1] op_sel_hi:[1,0] neg_lo:[0,1] neg_hi:[0,1]
	v_pk_add_f16 v10, v12, v11 op_sel:[0,1] op_sel_hi:[1,0] neg_lo:[0,1] neg_hi:[0,1]
	;; [unrolled: 1-line block ×3, first 2 shown]
	v_bfi_b32 v8, 0xffff, v8, v9
	v_bfi_b32 v7, 0xffff, v10, v7
	ds_write_b32 v0, v8 offset:1428
	ds_write_b32 v4, v7 offset:1836
	s_waitcnt lgkmcnt(0)
	s_barrier
	buffer_gl0_inv
	s_and_saveexec_b32 s0, vcc_lo
	s_cbranch_execz .LBB0_26
; %bb.24:
	v_mul_lo_u32 v0, s3, v5
	v_mul_lo_u32 v7, s2, v6
	v_mad_u64_u32 v[5:6], null, s2, v5, 0
	v_lshl_add_u32 v21, v3, 2, 0
	v_mov_b32_e32 v4, 0
	v_add_nc_u32_e32 v9, 0x66, v3
	ds_read2_b32 v[11:12], v21 offset1:51
	v_add3_u32 v6, v6, v7, v0
	v_lshlrev_b64 v[0:1], 2, v[1:2]
	v_add_nc_u32_e32 v7, 51, v3
	v_lshlrev_b64 v[13:14], 2, v[3:4]
	v_mov_b32_e32 v8, v4
	v_lshlrev_b64 v[5:6], 2, v[5:6]
	v_mov_b32_e32 v10, v4
	ds_read2_b32 v[15:16], v21 offset0:102 offset1:153
	v_mov_b32_e32 v18, v4
	v_add_co_u32 v2, vcc_lo, s10, v5
	v_add_co_ci_u32_e32 v17, vcc_lo, s11, v6, vcc_lo
	v_lshlrev_b64 v[5:6], 2, v[7:8]
	v_add_co_u32 v0, vcc_lo, v2, v0
	v_add_co_ci_u32_e32 v1, vcc_lo, v17, v1, vcc_lo
	v_lshlrev_b64 v[7:8], 2, v[9:10]
	v_add_co_u32 v9, vcc_lo, v0, v13
	v_add_co_ci_u32_e32 v10, vcc_lo, v1, v14, vcc_lo
	v_add_nc_u32_e32 v13, 0x99, v3
	v_mov_b32_e32 v14, v4
	v_add_co_u32 v5, vcc_lo, v0, v5
	v_add_co_ci_u32_e32 v6, vcc_lo, v1, v6, vcc_lo
	v_lshlrev_b64 v[13:14], 2, v[13:14]
	v_add_co_u32 v7, vcc_lo, v0, v7
	v_add_co_ci_u32_e32 v8, vcc_lo, v1, v8, vcc_lo
	s_waitcnt lgkmcnt(1)
	global_store_dword v[9:10], v11, off
	global_store_dword v[5:6], v12, off
	s_waitcnt lgkmcnt(0)
	global_store_dword v[7:8], v15, off
	v_add_co_u32 v5, vcc_lo, v0, v13
	v_add_co_ci_u32_e32 v6, vcc_lo, v1, v14, vcc_lo
	v_add_nc_u32_e32 v2, 0x400, v21
	v_add_nc_u32_e32 v7, 0xcc, v3
	v_mov_b32_e32 v8, v4
	global_store_dword v[5:6], v16, off
	ds_read2_b32 v[5:6], v21 offset0:204 offset1:255
	v_add_nc_u32_e32 v9, 0xff, v3
	v_mov_b32_e32 v10, v4
	ds_read2_b32 v[13:14], v2 offset0:50 offset1:101
	v_lshlrev_b64 v[7:8], 2, v[7:8]
	v_add_nc_u32_e32 v11, 0x132, v3
	v_mov_b32_e32 v12, v4
	v_lshlrev_b64 v[9:10], 2, v[9:10]
	v_add_nc_u32_e32 v15, 0x165, v3
	v_mov_b32_e32 v16, v4
	v_add_co_u32 v7, vcc_lo, v0, v7
	v_lshlrev_b64 v[11:12], 2, v[11:12]
	v_add_co_ci_u32_e32 v8, vcc_lo, v1, v8, vcc_lo
	v_add_co_u32 v9, vcc_lo, v0, v9
	ds_read2_b32 v[19:20], v2 offset0:152 offset1:203
	v_add_co_ci_u32_e32 v10, vcc_lo, v1, v10, vcc_lo
	v_add_co_u32 v11, vcc_lo, v0, v11
	v_add_nc_u32_e32 v17, 0x198, v3
	v_add_co_ci_u32_e32 v12, vcc_lo, v1, v12, vcc_lo
	v_lshlrev_b64 v[15:16], 2, v[15:16]
	s_waitcnt lgkmcnt(2)
	global_store_dword v[7:8], v5, off
	global_store_dword v[9:10], v6, off
	s_waitcnt lgkmcnt(1)
	global_store_dword v[11:12], v13, off
	v_lshlrev_b64 v[5:6], 2, v[17:18]
	v_add_nc_u32_e32 v2, 0x600, v21
	v_add_nc_u32_e32 v9, 0x1cb, v3
	v_mov_b32_e32 v10, v4
	v_add_co_u32 v7, vcc_lo, v0, v15
	v_add_co_ci_u32_e32 v8, vcc_lo, v1, v16, vcc_lo
	v_add_co_u32 v5, vcc_lo, v0, v5
	v_add_co_ci_u32_e32 v6, vcc_lo, v1, v6, vcc_lo
	v_add_nc_u32_e32 v11, 0x1fe, v3
	v_mov_b32_e32 v12, v4
	global_store_dword v[7:8], v14, off
	s_waitcnt lgkmcnt(0)
	global_store_dword v[5:6], v19, off
	ds_read2_b32 v[7:8], v2 offset0:126 offset1:177
	v_lshlrev_b64 v[5:6], 2, v[9:10]
	v_add_nc_u32_e32 v13, 0x264, v3
	v_lshlrev_b64 v[9:10], 2, v[11:12]
	v_add_nc_u32_e32 v11, 0x231, v3
	v_mov_b32_e32 v14, v4
	v_add_nc_u32_e32 v2, 0x800, v21
	v_add_co_u32 v5, vcc_lo, v0, v5
	v_lshlrev_b64 v[11:12], 2, v[11:12]
	v_add_co_ci_u32_e32 v6, vcc_lo, v1, v6, vcc_lo
	v_add_co_u32 v9, vcc_lo, v0, v9
	v_add_co_ci_u32_e32 v10, vcc_lo, v1, v10, vcc_lo
	v_add_co_u32 v11, vcc_lo, v0, v11
	v_add_co_ci_u32_e32 v12, vcc_lo, v1, v12, vcc_lo
	global_store_dword v[5:6], v20, off
	s_waitcnt lgkmcnt(0)
	global_store_dword v[9:10], v7, off
	global_store_dword v[11:12], v8, off
	v_add_nc_u32_e32 v9, 0x297, v3
	v_mov_b32_e32 v10, v4
	v_lshlrev_b64 v[7:8], 2, v[13:14]
	v_add_nc_u32_e32 v11, 0x2ca, v3
	v_mov_b32_e32 v12, v4
	ds_read2_b32 v[5:6], v2 offset0:100 offset1:151
	v_lshlrev_b64 v[9:10], 2, v[9:10]
	v_add_nc_u32_e32 v15, 0x2fd, v3
	v_mov_b32_e32 v16, v4
	ds_read2_b32 v[13:14], v2 offset0:202 offset1:253
	v_add_co_u32 v7, vcc_lo, v0, v7
	v_lshlrev_b64 v[11:12], 2, v[11:12]
	v_add_co_ci_u32_e32 v8, vcc_lo, v1, v8, vcc_lo
	v_add_co_u32 v9, vcc_lo, v0, v9
	v_lshlrev_b64 v[15:16], 2, v[15:16]
	v_add_co_ci_u32_e32 v10, vcc_lo, v1, v10, vcc_lo
	v_add_co_u32 v11, vcc_lo, v0, v11
	v_add_co_ci_u32_e32 v12, vcc_lo, v1, v12, vcc_lo
	v_add_co_u32 v15, vcc_lo, v0, v15
	v_add_co_ci_u32_e32 v16, vcc_lo, v1, v16, vcc_lo
	v_cmp_eq_u32_e32 vcc_lo, 50, v3
	s_waitcnt lgkmcnt(1)
	global_store_dword v[7:8], v5, off
	global_store_dword v[9:10], v6, off
	s_waitcnt lgkmcnt(0)
	global_store_dword v[11:12], v13, off
	global_store_dword v[15:16], v14, off
	s_and_b32 exec_lo, exec_lo, vcc_lo
	s_cbranch_execz .LBB0_26
; %bb.25:
	ds_read_b32 v2, v4 offset:3264
	v_add_co_u32 v0, vcc_lo, 0x800, v0
	v_add_co_ci_u32_e32 v1, vcc_lo, 0, v1, vcc_lo
	s_waitcnt lgkmcnt(0)
	global_store_dword v[0:1], v2, off offset:1216
.LBB0_26:
	s_endpgm
	.section	.rodata,"a",@progbits
	.p2align	6, 0x0
	.amdhsa_kernel fft_rtc_back_len816_factors_17_2_3_2_2_2_wgs_51_tpt_51_halfLds_half_op_CI_CI_unitstride_sbrr_R2C_dirReg
		.amdhsa_group_segment_fixed_size 0
		.amdhsa_private_segment_fixed_size 0
		.amdhsa_kernarg_size 104
		.amdhsa_user_sgpr_count 6
		.amdhsa_user_sgpr_private_segment_buffer 1
		.amdhsa_user_sgpr_dispatch_ptr 0
		.amdhsa_user_sgpr_queue_ptr 0
		.amdhsa_user_sgpr_kernarg_segment_ptr 1
		.amdhsa_user_sgpr_dispatch_id 0
		.amdhsa_user_sgpr_flat_scratch_init 0
		.amdhsa_user_sgpr_private_segment_size 0
		.amdhsa_wavefront_size32 1
		.amdhsa_uses_dynamic_stack 0
		.amdhsa_system_sgpr_private_segment_wavefront_offset 0
		.amdhsa_system_sgpr_workgroup_id_x 1
		.amdhsa_system_sgpr_workgroup_id_y 0
		.amdhsa_system_sgpr_workgroup_id_z 0
		.amdhsa_system_sgpr_workgroup_info 0
		.amdhsa_system_vgpr_workitem_id 0
		.amdhsa_next_free_vgpr 166
		.amdhsa_next_free_sgpr 27
		.amdhsa_reserve_vcc 1
		.amdhsa_reserve_flat_scratch 0
		.amdhsa_float_round_mode_32 0
		.amdhsa_float_round_mode_16_64 0
		.amdhsa_float_denorm_mode_32 3
		.amdhsa_float_denorm_mode_16_64 3
		.amdhsa_dx10_clamp 1
		.amdhsa_ieee_mode 1
		.amdhsa_fp16_overflow 0
		.amdhsa_workgroup_processor_mode 1
		.amdhsa_memory_ordered 1
		.amdhsa_forward_progress 0
		.amdhsa_shared_vgpr_count 0
		.amdhsa_exception_fp_ieee_invalid_op 0
		.amdhsa_exception_fp_denorm_src 0
		.amdhsa_exception_fp_ieee_div_zero 0
		.amdhsa_exception_fp_ieee_overflow 0
		.amdhsa_exception_fp_ieee_underflow 0
		.amdhsa_exception_fp_ieee_inexact 0
		.amdhsa_exception_int_div_zero 0
	.end_amdhsa_kernel
	.text
.Lfunc_end0:
	.size	fft_rtc_back_len816_factors_17_2_3_2_2_2_wgs_51_tpt_51_halfLds_half_op_CI_CI_unitstride_sbrr_R2C_dirReg, .Lfunc_end0-fft_rtc_back_len816_factors_17_2_3_2_2_2_wgs_51_tpt_51_halfLds_half_op_CI_CI_unitstride_sbrr_R2C_dirReg
                                        ; -- End function
	.section	.AMDGPU.csdata,"",@progbits
; Kernel info:
; codeLenInByte = 14688
; NumSgprs: 29
; NumVgprs: 166
; ScratchSize: 0
; MemoryBound: 0
; FloatMode: 240
; IeeeMode: 1
; LDSByteSize: 0 bytes/workgroup (compile time only)
; SGPRBlocks: 3
; VGPRBlocks: 20
; NumSGPRsForWavesPerEU: 29
; NumVGPRsForWavesPerEU: 166
; Occupancy: 5
; WaveLimiterHint : 1
; COMPUTE_PGM_RSRC2:SCRATCH_EN: 0
; COMPUTE_PGM_RSRC2:USER_SGPR: 6
; COMPUTE_PGM_RSRC2:TRAP_HANDLER: 0
; COMPUTE_PGM_RSRC2:TGID_X_EN: 1
; COMPUTE_PGM_RSRC2:TGID_Y_EN: 0
; COMPUTE_PGM_RSRC2:TGID_Z_EN: 0
; COMPUTE_PGM_RSRC2:TIDIG_COMP_CNT: 0
	.text
	.p2alignl 6, 3214868480
	.fill 48, 4, 3214868480
	.type	__hip_cuid_bde585da5986601b,@object ; @__hip_cuid_bde585da5986601b
	.section	.bss,"aw",@nobits
	.globl	__hip_cuid_bde585da5986601b
__hip_cuid_bde585da5986601b:
	.byte	0                               ; 0x0
	.size	__hip_cuid_bde585da5986601b, 1

	.ident	"AMD clang version 19.0.0git (https://github.com/RadeonOpenCompute/llvm-project roc-6.4.0 25133 c7fe45cf4b819c5991fe208aaa96edf142730f1d)"
	.section	".note.GNU-stack","",@progbits
	.addrsig
	.addrsig_sym __hip_cuid_bde585da5986601b
	.amdgpu_metadata
---
amdhsa.kernels:
  - .args:
      - .actual_access:  read_only
        .address_space:  global
        .offset:         0
        .size:           8
        .value_kind:     global_buffer
      - .offset:         8
        .size:           8
        .value_kind:     by_value
      - .actual_access:  read_only
        .address_space:  global
        .offset:         16
        .size:           8
        .value_kind:     global_buffer
      - .actual_access:  read_only
        .address_space:  global
        .offset:         24
        .size:           8
        .value_kind:     global_buffer
      - .actual_access:  read_only
        .address_space:  global
        .offset:         32
        .size:           8
        .value_kind:     global_buffer
      - .offset:         40
        .size:           8
        .value_kind:     by_value
      - .actual_access:  read_only
        .address_space:  global
        .offset:         48
        .size:           8
        .value_kind:     global_buffer
      - .actual_access:  read_only
        .address_space:  global
        .offset:         56
        .size:           8
        .value_kind:     global_buffer
      - .offset:         64
        .size:           4
        .value_kind:     by_value
      - .actual_access:  read_only
        .address_space:  global
        .offset:         72
        .size:           8
        .value_kind:     global_buffer
      - .actual_access:  read_only
        .address_space:  global
        .offset:         80
        .size:           8
        .value_kind:     global_buffer
      - .actual_access:  read_only
        .address_space:  global
        .offset:         88
        .size:           8
        .value_kind:     global_buffer
      - .actual_access:  write_only
        .address_space:  global
        .offset:         96
        .size:           8
        .value_kind:     global_buffer
    .group_segment_fixed_size: 0
    .kernarg_segment_align: 8
    .kernarg_segment_size: 104
    .language:       OpenCL C
    .language_version:
      - 2
      - 0
    .max_flat_workgroup_size: 51
    .name:           fft_rtc_back_len816_factors_17_2_3_2_2_2_wgs_51_tpt_51_halfLds_half_op_CI_CI_unitstride_sbrr_R2C_dirReg
    .private_segment_fixed_size: 0
    .sgpr_count:     29
    .sgpr_spill_count: 0
    .symbol:         fft_rtc_back_len816_factors_17_2_3_2_2_2_wgs_51_tpt_51_halfLds_half_op_CI_CI_unitstride_sbrr_R2C_dirReg.kd
    .uniform_work_group_size: 1
    .uses_dynamic_stack: false
    .vgpr_count:     166
    .vgpr_spill_count: 0
    .wavefront_size: 32
    .workgroup_processor_mode: 1
amdhsa.target:   amdgcn-amd-amdhsa--gfx1030
amdhsa.version:
  - 1
  - 2
...

	.end_amdgpu_metadata
